;; amdgpu-corpus repo=ROCm/rocSPARSE kind=compiled arch=gfx90a opt=O3
	.text
	.amdgcn_target "amdgcn-amd-amdhsa--gfx90a"
	.amdhsa_code_object_version 6
	.section	.text._ZN9rocsparseL15bsrilu0_generalILj128ELj64ELb1EfEEv20rocsparse_direction_iPKiS3_PT2_S3_iPiS3_S6_21rocsparse_index_base_imNS_24const_host_device_scalarIfEENS8_IdEENS8_IS4_EEb,"axG",@progbits,_ZN9rocsparseL15bsrilu0_generalILj128ELj64ELb1EfEEv20rocsparse_direction_iPKiS3_PT2_S3_iPiS3_S6_21rocsparse_index_base_imNS_24const_host_device_scalarIfEENS8_IdEENS8_IS4_EEb,comdat
	.globl	_ZN9rocsparseL15bsrilu0_generalILj128ELj64ELb1EfEEv20rocsparse_direction_iPKiS3_PT2_S3_iPiS3_S6_21rocsparse_index_base_imNS_24const_host_device_scalarIfEENS8_IdEENS8_IS4_EEb ; -- Begin function _ZN9rocsparseL15bsrilu0_generalILj128ELj64ELb1EfEEv20rocsparse_direction_iPKiS3_PT2_S3_iPiS3_S6_21rocsparse_index_base_imNS_24const_host_device_scalarIfEENS8_IdEENS8_IS4_EEb
	.p2align	8
	.type	_ZN9rocsparseL15bsrilu0_generalILj128ELj64ELb1EfEEv20rocsparse_direction_iPKiS3_PT2_S3_iPiS3_S6_21rocsparse_index_base_imNS_24const_host_device_scalarIfEENS8_IdEENS8_IS4_EEb,@function
_ZN9rocsparseL15bsrilu0_generalILj128ELj64ELb1EfEEv20rocsparse_direction_iPKiS3_PT2_S3_iPiS3_S6_21rocsparse_index_base_imNS_24const_host_device_scalarIfEENS8_IdEENS8_IS4_EEb: ; @_ZN9rocsparseL15bsrilu0_generalILj128ELj64ELb1EfEEv20rocsparse_direction_iPKiS3_PT2_S3_iPiS3_S6_21rocsparse_index_base_imNS_24const_host_device_scalarIfEENS8_IdEENS8_IS4_EEb
; %bb.0:
	s_load_dword s0, s[4:5], 0x70
	s_load_dwordx2 s[24:25], s[4:5], 0x48
	s_load_dwordx8 s[16:23], s[4:5], 0x50
	s_waitcnt lgkmcnt(0)
	s_bitcmp1_b32 s0, 0
	s_cselect_b64 s[0:1], -1, 0
	s_cmp_lg_u32 s25, 0
	s_cselect_b64 s[28:29], -1, 0
	s_cmp_eq_u32 s25, 0
	s_cselect_b64 s[2:3], -1, 0
	s_and_b64 s[8:9], s[2:3], exec
	s_cselect_b32 s10, 0, s20
	s_cselect_b32 s11, 0, s21
	s_or_b64 s[0:1], s[2:3], s[0:1]
	s_xor_b64 s[8:9], s[0:1], -1
	s_and_b64 vcc, exec, s[0:1]
	s_cbranch_vccnz .LBB0_2
; %bb.1:
	s_load_dword s0, s[18:19], 0x0
	s_mov_b64 s[10:11], s[20:21]
	s_waitcnt lgkmcnt(0)
	v_mov_b32_e32 v25, s0
	s_branch .LBB0_3
.LBB0_2:
	v_mov_b32_e32 v1, s18
	v_cndmask_b32_e64 v25, v1, 0, s[2:3]
.LBB0_3:
	v_cndmask_b32_e64 v1, 0, 1, s[8:9]
	v_cmp_ne_u32_e64 s[0:1], 1, v1
	s_andn2_b64 vcc, exec, s[8:9]
	v_pk_mov_b32 v[8:9], s[10:11], s[10:11] op_sel:[0,1]
	s_cbranch_vccnz .LBB0_5
; %bb.4:
	v_pk_mov_b32 v[2:3], s[20:21], s[20:21] op_sel:[0,1]
	flat_load_dwordx2 v[8:9], v[2:3]
.LBB0_5:
	s_and_b64 vcc, exec, s[0:1]
	s_cbranch_vccnz .LBB0_7
; %bb.6:
	s_load_dword s0, s[22:23], 0x0
	s_waitcnt lgkmcnt(0)
	v_mov_b32_e32 v24, s0
	s_branch .LBB0_8
.LBB0_7:
	v_mov_b32_e32 v1, s22
	v_cndmask_b32_e64 v24, v1, 0, s[2:3]
.LBB0_8:
	s_load_dwordx2 s[26:27], s[4:5], 0x0
	s_lshl_b32 s0, s6, 1
	v_lshrrev_b32_e32 v1, 6, v0
	s_and_b32 s0, s0, 0x3fffffe
	v_or_b32_e32 v1, s0, v1
	s_waitcnt lgkmcnt(0)
	v_cmp_gt_i32_e32 vcc, s27, v1
	s_and_saveexec_b64 s[0:1], vcc
	s_cbranch_execz .LBB0_155
; %bb.9:
	s_load_dwordx4 s[20:23], s[4:5], 0x30
	s_load_dwordx2 s[18:19], s[4:5], 0x40
	v_lshlrev_b32_e32 v1, 2, v1
	s_load_dwordx8 s[8:15], s[4:5], 0x8
	v_and_b32_e32 v0, 63, v0
	s_waitcnt lgkmcnt(0)
	global_load_dword v2, v1, s[22:23]
	s_mov_b64 s[0:1], -1
	v_mov_b32_e32 v1, s15
	s_waitcnt vmcnt(0)
	v_ashrrev_i32_e32 v3, 31, v2
	v_lshlrev_b64 v[4:5], 2, v[2:3]
	v_add_co_u32_e32 v6, vcc, s14, v4
	v_addc_co_u32_e32 v7, vcc, v1, v5, vcc
	global_load_dword v6, v[6:7], off
	s_waitcnt vmcnt(0)
	v_cmp_ne_u32_e32 vcc, -1, v6
	s_and_saveexec_b64 s[22:23], vcc
	s_cbranch_execz .LBB0_149
; %bb.10:
	v_mov_b32_e32 v1, s9
	v_add_co_u32_e32 v10, vcc, s8, v4
	v_addc_co_u32_e32 v11, vcc, v1, v5, vcc
	global_load_dwordx2 v[10:11], v[10:11], off
	s_load_dword s25, s[4:5], 0x28
	s_mov_b64 s[6:7], 0
	s_waitcnt vmcnt(0)
	v_subrev_u32_e32 v10, s24, v10
	v_subrev_u32_e32 v1, s24, v11
	v_cmp_lt_i32_e32 vcc, v10, v6
	s_and_saveexec_b64 s[30:31], vcc
	s_cbranch_execz .LBB0_84
; %bb.11:
	s_waitcnt lgkmcnt(0)
	s_cmp_gt_i32 s25, 0
	s_cselect_b64 s[34:35], -1, 0
	s_cmp_lg_u32 s26, 0
	s_cselect_b64 s[36:37], -1, 0
	v_add_u32_e32 v12, v10, v0
	s_add_i32 s27, s27, 1
	v_ashrrev_i32_e32 v13, 31, v12
	s_add_u32 s33, s8, 4
	v_lshlrev_b64 v[14:15], 2, v[12:13]
	s_addc_u32 s60, s9, 0
	v_mov_b32_e32 v3, s11
	v_add_co_u32_e32 v14, vcc, s10, v14
	s_add_u32 s61, s10, 0x100
	v_mad_u64_u32 v[16:17], s[6:7], s25, v10, v[0:1]
	v_mbcnt_lo_u32_b32 v11, -1, 0
	v_cmp_gt_i32_e64 s[0:1], s25, v0
	v_cmp_le_i32_e64 s[2:3], s25, v0
	v_cmp_lt_i32_e64 s[4:5], v12, v1
	v_addc_co_u32_e32 v15, vcc, v3, v15, vcc
	s_addc_u32 s62, s11, 0
	v_mul_lo_u32 v7, s25, v16
	s_mul_i32 s63, s25, s25
	s_lshl_b32 s64, s25, 6
	s_mov_b64 s[44:45], 0
	s_mov_b64 s[38:39], 0
	v_mov_b32_e32 v13, s15
	v_mbcnt_hi_u32_b32 v26, -1, v11
                                        ; implicit-def: $sgpr40_sgpr41
                                        ; implicit-def: $sgpr42_sgpr43
	s_branch .LBB0_14
.LBB0_12:                               ;   in Loop: Header=BB0_14 Depth=1
	s_or_b64 exec, exec, s[8:9]
	s_andn2_b64 s[8:9], s[42:43], exec
	s_and_b64 s[42:43], s[44:45], exec
	s_or_b64 s[42:43], s[8:9], s[42:43]
.LBB0_13:                               ;   in Loop: Header=BB0_14 Depth=1
	s_or_b64 exec, exec, s[46:47]
	v_add_u32_e32 v10, 1, v10
	v_cmp_ge_i32_e32 vcc, v10, v6
	s_xor_b64 s[6:7], s[6:7], -1
	s_or_b64 s[6:7], s[6:7], vcc
	s_and_b64 s[6:7], exec, s[6:7]
	s_or_b64 s[38:39], s[6:7], s[38:39]
	s_andn2_b64 s[6:7], s[40:41], exec
	s_and_b64 s[8:9], s[42:43], exec
	v_add_u32_e32 v7, s63, v7
	s_or_b64 s[40:41], s[6:7], s[8:9]
	s_mov_b64 s[44:45], s[42:43]
	s_andn2_b64 exec, exec, s[38:39]
	s_cbranch_execz .LBB0_83
.LBB0_14:                               ; =>This Loop Header: Depth=1
                                        ;     Child Loop BB0_18 Depth 2
                                        ;       Child Loop BB0_19 Depth 3
                                        ;     Child Loop BB0_24 Depth 2
                                        ;       Child Loop BB0_29 Depth 3
                                        ;         Child Loop BB0_39 Depth 4
                                        ;     Child Loop BB0_57 Depth 2
                                        ;       Child Loop BB0_62 Depth 3
                                        ;       Child Loop BB0_69 Depth 3
                                        ;         Child Loop BB0_72 Depth 4
                                        ;           Child Loop BB0_74 Depth 5
	v_ashrrev_i32_e32 v11, 31, v10
	v_lshlrev_b64 v[16:17], 2, v[10:11]
	v_add_co_u32_e32 v16, vcc, s10, v16
	v_addc_co_u32_e32 v17, vcc, v3, v17, vcc
	global_load_dword v11, v[16:17], off
	s_or_b64 s[42:43], s[42:43], exec
	s_waitcnt vmcnt(0)
	v_subrev_u32_e32 v16, s24, v11
	v_ashrrev_i32_e32 v17, 31, v16
	v_lshlrev_b64 v[16:17], 2, v[16:17]
	s_waitcnt lgkmcnt(0)
	v_add_co_u32_e32 v18, vcc, s14, v16
	v_addc_co_u32_e32 v19, vcc, v13, v17, vcc
	global_load_dword v19, v[18:19], off
	s_waitcnt vmcnt(0)
	v_cmp_ne_u32_e64 s[6:7], -1, v19
	s_and_saveexec_b64 s[46:47], s[6:7]
	s_cbranch_execz .LBB0_13
; %bb.15:                               ;   in Loop: Header=BB0_14 Depth=1
	v_mov_b32_e32 v11, s60
	v_add_co_u32_e32 v20, vcc, s33, v16
	v_addc_co_u32_e32 v21, vcc, v11, v17, vcc
	v_mov_b32_e32 v11, s21
	v_add_co_u32_e32 v16, vcc, s20, v16
	v_addc_co_u32_e32 v17, vcc, v11, v17, vcc
	global_load_dword v27, v[20:21], off
	global_load_dword v11, v[16:17], off glc
	s_waitcnt vmcnt(0)
	v_cmp_eq_u32_e32 vcc, 0, v11
	s_and_saveexec_b64 s[8:9], vcc
	s_cbranch_execz .LBB0_20
; %bb.16:                               ;   in Loop: Header=BB0_14 Depth=1
	s_mov_b32 s15, 0
	s_mov_b64 s[48:49], 0
	s_branch .LBB0_18
.LBB0_17:                               ;   in Loop: Header=BB0_18 Depth=2
	global_load_dword v11, v[16:17], off glc
	s_cmpk_lt_u32 s15, 0xf43
	s_cselect_b64 s[50:51], -1, 0
	s_cmp_lg_u64 s[50:51], 0
	s_addc_u32 s15, s15, 0
	s_waitcnt vmcnt(0)
	v_cmp_ne_u32_e32 vcc, 0, v11
	s_or_b64 s[48:49], vcc, s[48:49]
	s_andn2_b64 exec, exec, s[48:49]
	s_cbranch_execz .LBB0_20
.LBB0_18:                               ;   Parent Loop BB0_14 Depth=1
                                        ; =>  This Loop Header: Depth=2
                                        ;       Child Loop BB0_19 Depth 3
	s_cmp_eq_u32 s15, 0
	s_mov_b32 s50, s15
	s_cbranch_scc1 .LBB0_17
.LBB0_19:                               ;   Parent Loop BB0_14 Depth=1
                                        ;     Parent Loop BB0_18 Depth=2
                                        ; =>    This Inner Loop Header: Depth=3
	s_add_i32 s50, s50, -1
	s_cmp_eq_u32 s50, 0
	s_sleep 1
	s_cbranch_scc0 .LBB0_19
	s_branch .LBB0_17
.LBB0_20:                               ;   in Loop: Header=BB0_14 Depth=1
	s_or_b64 exec, exec, s[8:9]
	s_andn2_b64 vcc, exec, s[34:35]
	v_mul_lo_u32 v11, v10, s25
	buffer_wbinvl1_vol
	s_cbranch_vccnz .LBB0_53
; %bb.21:                               ;   in Loop: Header=BB0_14 Depth=1
	v_mul_lo_u32 v17, v19, s25
	s_mov_b64 s[48:49], 0
	v_mov_b32_e32 v16, 0
	s_branch .LBB0_24
.LBB0_22:                               ;   in Loop: Header=BB0_24 Depth=2
	s_or_b64 exec, exec, s[52:53]
	v_mov_b32_e32 v16, v28
.LBB0_23:                               ;   in Loop: Header=BB0_24 Depth=2
	s_or_b64 exec, exec, s[50:51]
	v_cmp_eq_u32_e32 vcc, s25, v16
	s_or_b64 s[48:49], vcc, s[48:49]
	s_andn2_b64 exec, exec, s[48:49]
	s_cbranch_execz .LBB0_52
.LBB0_24:                               ;   Parent Loop BB0_14 Depth=1
                                        ; =>  This Loop Header: Depth=2
                                        ;       Child Loop BB0_29 Depth 3
                                        ;         Child Loop BB0_39 Depth 4
	v_add_u32_e32 v28, 1, v16
	s_and_saveexec_b64 s[8:9], s[2:3]
	s_xor_b64 s[8:9], exec, s[8:9]
; %bb.25:                               ;   in Loop: Header=BB0_24 Depth=2
	v_add_u32_e32 v16, 1, v16
                                        ; implicit-def: $vgpr28
; %bb.26:                               ;   in Loop: Header=BB0_24 Depth=2
	s_andn2_saveexec_b64 s[50:51], s[8:9]
	s_cbranch_execz .LBB0_23
; %bb.27:                               ;   in Loop: Header=BB0_24 Depth=2
	v_add_u32_e32 v18, v16, v17
	v_mul_lo_u32 v29, v18, s25
	v_add_u32_e32 v20, v29, v16
	v_ashrrev_i32_e32 v21, 31, v20
	v_lshlrev_b64 v[20:21], 2, v[20:21]
	v_mov_b32_e32 v18, s13
	v_add_co_u32_e32 v20, vcc, s12, v20
	v_addc_co_u32_e32 v21, vcc, v18, v21, vcc
	global_load_dword v30, v[20:21], off
	v_add_u32_e32 v18, v16, v11
	v_mul_lo_u32 v31, v18, s25
	v_cmp_gt_i32_e64 s[8:9], s25, v28
	s_mov_b64 s[52:53], 0
	v_mov_b32_e32 v32, v7
	v_mov_b32_e32 v18, v0
	s_branch .LBB0_29
.LBB0_28:                               ;   in Loop: Header=BB0_29 Depth=3
	s_or_b64 exec, exec, s[54:55]
	v_add_u32_e32 v18, 64, v18
	v_cmp_le_i32_e32 vcc, s25, v18
	s_or_b64 s[52:53], vcc, s[52:53]
	v_add_u32_e32 v32, s64, v32
	s_andn2_b64 exec, exec, s[52:53]
	s_cbranch_execz .LBB0_22
.LBB0_29:                               ;   Parent Loop BB0_14 Depth=1
                                        ;     Parent Loop BB0_24 Depth=2
                                        ; =>    This Loop Header: Depth=3
                                        ;         Child Loop BB0_39 Depth 4
	s_and_b64 vcc, exec, s[36:37]
	v_add_u32_e32 v20, v18, v31
	s_cbranch_vccz .LBB0_50
; %bb.30:                               ;   in Loop: Header=BB0_29 Depth=3
	v_add_u32_e32 v22, v18, v31
	v_add_u32_e32 v21, v18, v11
	s_cbranch_execnz .LBB0_32
.LBB0_31:                               ;   in Loop: Header=BB0_29 Depth=3
	v_mad_u64_u32 v[22:23], s[54:55], v21, s25, v[16:17]
.LBB0_32:                               ;   in Loop: Header=BB0_29 Depth=3
	v_ashrrev_i32_e32 v23, 31, v22
	v_lshlrev_b64 v[22:23], 2, v[22:23]
	v_mov_b32_e32 v33, s13
	v_add_co_u32_e32 v22, vcc, s12, v22
	v_addc_co_u32_e32 v23, vcc, v33, v23, vcc
	global_load_dword v22, v[22:23], off
	s_and_b64 vcc, exec, s[36:37]
	s_cbranch_vccz .LBB0_51
; %bb.33:                               ;   in Loop: Header=BB0_29 Depth=3
	s_cbranch_execnz .LBB0_35
.LBB0_34:                               ;   in Loop: Header=BB0_29 Depth=3
	v_mad_u64_u32 v[20:21], s[54:55], v21, s25, v[16:17]
.LBB0_35:                               ;   in Loop: Header=BB0_29 Depth=3
	s_waitcnt vmcnt(0)
	v_div_scale_f32 v21, s[54:55], v30, v30, v22
	v_rcp_f32_e32 v23, v21
	v_div_scale_f32 v33, vcc, v22, v30, v22
	v_fma_f32 v34, -v21, v23, 1.0
	v_fmac_f32_e32 v23, v34, v23
	v_mul_f32_e32 v34, v33, v23
	v_fma_f32 v35, -v21, v34, v33
	v_fmac_f32_e32 v34, v35, v23
	v_fma_f32 v21, -v21, v34, v33
	v_div_fmas_f32 v21, v21, v23, v34
	v_div_fixup_f32 v22, v21, v30, v22
	v_ashrrev_i32_e32 v21, 31, v20
	v_lshlrev_b64 v[20:21], 2, v[20:21]
	v_mov_b32_e32 v23, s13
	v_add_co_u32_e32 v20, vcc, s12, v20
	v_addc_co_u32_e32 v21, vcc, v23, v21, vcc
	global_store_dword v[20:21], v22, off
	s_and_saveexec_b64 s[54:55], s[8:9]
	s_cbranch_execz .LBB0_28
; %bb.36:                               ;   in Loop: Header=BB0_29 Depth=3
	s_mov_b64 s[56:57], 0
	v_mov_b32_e32 v23, v28
	s_branch .LBB0_39
.LBB0_37:                               ;   in Loop: Header=BB0_39 Depth=4
	v_mov_b32_e32 v20, v35
.LBB0_38:                               ;   in Loop: Header=BB0_39 Depth=4
	v_ashrrev_i32_e32 v21, 31, v20
	v_lshlrev_b64 v[20:21], 2, v[20:21]
	v_mov_b32_e32 v34, s13
	v_add_co_u32_e32 v20, vcc, s12, v20
	v_addc_co_u32_e32 v21, vcc, v34, v21, vcc
	v_add_u32_e32 v23, 1, v23
	v_cmp_le_i32_e32 vcc, s25, v23
	s_waitcnt vmcnt(0)
	v_fma_f32 v33, -v22, v33, v36
	s_or_b64 s[56:57], vcc, s[56:57]
	global_store_dword v[20:21], v33, off
	s_andn2_b64 exec, exec, s[56:57]
	s_cbranch_execz .LBB0_28
.LBB0_39:                               ;   Parent Loop BB0_14 Depth=1
                                        ;     Parent Loop BB0_24 Depth=2
                                        ;       Parent Loop BB0_29 Depth=3
                                        ; =>      This Inner Loop Header: Depth=4
	s_and_b64 vcc, exec, s[36:37]
	s_cbranch_vccz .LBB0_47
; %bb.40:                               ;   in Loop: Header=BB0_39 Depth=4
	v_add_u32_e32 v20, v23, v17
	v_mad_u64_u32 v[20:21], s[58:59], v20, s25, v[16:17]
	s_cbranch_execnz .LBB0_42
.LBB0_41:                               ;   in Loop: Header=BB0_39 Depth=4
	v_add_u32_e32 v20, v29, v23
.LBB0_42:                               ;   in Loop: Header=BB0_39 Depth=4
	v_ashrrev_i32_e32 v21, 31, v20
	v_lshlrev_b64 v[20:21], 2, v[20:21]
	v_mov_b32_e32 v33, s13
	v_add_co_u32_e32 v20, vcc, s12, v20
	v_addc_co_u32_e32 v21, vcc, v33, v21, vcc
	global_load_dword v33, v[20:21], off
	s_and_b64 vcc, exec, s[36:37]
	v_add_u32_e32 v34, v23, v11
	s_cbranch_vccz .LBB0_48
; %bb.43:                               ;   in Loop: Header=BB0_39 Depth=4
	v_mad_u64_u32 v[20:21], s[58:59], v34, s25, v[18:19]
	v_add_u32_e32 v35, v32, v23
	s_cbranch_execnz .LBB0_45
.LBB0_44:                               ;   in Loop: Header=BB0_39 Depth=4
	v_add_u32_e32 v20, v32, v23
.LBB0_45:                               ;   in Loop: Header=BB0_39 Depth=4
	v_ashrrev_i32_e32 v21, 31, v20
	v_lshlrev_b64 v[20:21], 2, v[20:21]
	v_mov_b32_e32 v36, s13
	v_add_co_u32_e32 v20, vcc, s12, v20
	v_addc_co_u32_e32 v21, vcc, v36, v21, vcc
	global_load_dword v36, v[20:21], off
	s_and_b64 vcc, exec, s[36:37]
	s_cbranch_vccz .LBB0_49
; %bb.46:                               ;   in Loop: Header=BB0_39 Depth=4
	v_mad_u64_u32 v[20:21], s[58:59], v34, s25, v[18:19]
	s_cbranch_execnz .LBB0_38
	s_branch .LBB0_37
.LBB0_47:                               ;   in Loop: Header=BB0_39 Depth=4
                                        ; implicit-def: $vgpr20
	s_branch .LBB0_41
.LBB0_48:                               ;   in Loop: Header=BB0_39 Depth=4
                                        ; implicit-def: $vgpr20
	v_add_u32_e32 v35, v32, v23
	s_branch .LBB0_44
.LBB0_49:                               ;   in Loop: Header=BB0_39 Depth=4
                                        ; implicit-def: $vgpr20
	s_branch .LBB0_37
.LBB0_50:                               ;   in Loop: Header=BB0_29 Depth=3
                                        ; implicit-def: $vgpr22
	v_add_u32_e32 v21, v18, v11
	s_branch .LBB0_31
.LBB0_51:                               ;   in Loop: Header=BB0_29 Depth=3
                                        ; implicit-def: $vgpr20
	s_branch .LBB0_34
.LBB0_52:                               ;   in Loop: Header=BB0_14 Depth=1
	s_or_b64 exec, exec, s[48:49]
.LBB0_53:                               ;   in Loop: Header=BB0_14 Depth=1
	v_subrev_u32_e32 v22, s24, v27
	v_add_u32_e32 v16, 1, v19
	v_cmp_lt_i32_e32 vcc, v16, v22
	s_and_saveexec_b64 s[8:9], vcc
	s_cbranch_execz .LBB0_12
; %bb.54:                               ;   in Loop: Header=BB0_14 Depth=1
	v_mul_lo_u32 v23, s63, v16
	s_mov_b64 s[48:49], 0
	s_branch .LBB0_57
.LBB0_55:                               ;   in Loop: Header=BB0_57 Depth=2
	s_or_b64 exec, exec, s[50:51]
.LBB0_56:                               ;   in Loop: Header=BB0_57 Depth=2
	v_add_u32_e32 v16, 1, v16
	v_cmp_ge_i32_e32 vcc, v16, v22
	s_or_b64 s[48:49], vcc, s[48:49]
	v_add_u32_e32 v23, s63, v23
	s_andn2_b64 exec, exec, s[48:49]
	s_cbranch_execz .LBB0_12
.LBB0_57:                               ;   Parent Loop BB0_14 Depth=1
                                        ; =>  This Loop Header: Depth=2
                                        ;       Child Loop BB0_62 Depth 3
                                        ;       Child Loop BB0_69 Depth 3
                                        ;         Child Loop BB0_72 Depth 4
                                        ;           Child Loop BB0_74 Depth 5
	v_ashrrev_i32_e32 v17, 31, v16
	s_waitcnt lgkmcnt(0)
	v_lshlrev_b64 v[18:19], 2, v[16:17]
	v_mov_b32_e32 v17, s11
	v_add_co_u32_e32 v18, vcc, s10, v18
	v_addc_co_u32_e32 v19, vcc, v17, v19, vcc
	global_load_dword v17, v[18:19], off
	v_mov_b32_e32 v19, s27
	s_and_saveexec_b64 s[50:51], s[4:5]
	s_cbranch_execz .LBB0_59
; %bb.58:                               ;   in Loop: Header=BB0_57 Depth=2
	global_load_dword v18, v[14:15], off
	s_waitcnt vmcnt(0)
	v_subrev_u32_e32 v19, s24, v18
.LBB0_59:                               ;   in Loop: Header=BB0_57 Depth=2
	s_or_b64 exec, exec, s[50:51]
	s_waitcnt vmcnt(0)
	v_subrev_u32_e32 v17, s24, v17
	v_cmp_lt_i32_e32 vcc, v19, v17
	v_mov_b32_e32 v20, v12
	s_and_saveexec_b64 s[50:51], vcc
	s_cbranch_execz .LBB0_65
; %bb.60:                               ;   in Loop: Header=BB0_57 Depth=2
	s_mov_b64 s[52:53], 0
	v_mov_b32_e32 v18, v12
	s_branch .LBB0_62
.LBB0_61:                               ;   in Loop: Header=BB0_62 Depth=3
	s_or_b64 exec, exec, s[54:55]
	v_cmp_ge_i32_e32 vcc, v19, v17
	s_or_b64 s[52:53], vcc, s[52:53]
	v_mov_b32_e32 v18, v20
	s_andn2_b64 exec, exec, s[52:53]
	s_cbranch_execz .LBB0_64
.LBB0_62:                               ;   Parent Loop BB0_14 Depth=1
                                        ;     Parent Loop BB0_57 Depth=2
                                        ; =>    This Inner Loop Header: Depth=3
	v_add_u32_e32 v20, 64, v18
	v_cmp_lt_i32_e32 vcc, v20, v1
	v_mov_b32_e32 v19, s27
	s_and_saveexec_b64 s[54:55], vcc
	s_cbranch_execz .LBB0_61
; %bb.63:                               ;   in Loop: Header=BB0_62 Depth=3
	v_ashrrev_i32_e32 v19, 31, v18
	v_lshlrev_b64 v[18:19], 2, v[18:19]
	v_mov_b32_e32 v21, s62
	v_add_co_u32_e32 v18, vcc, s61, v18
	v_addc_co_u32_e32 v19, vcc, v21, v19, vcc
	global_load_dword v18, v[18:19], off
	s_waitcnt vmcnt(0)
	v_subrev_u32_e32 v19, s24, v18
	s_branch .LBB0_61
.LBB0_64:                               ;   in Loop: Header=BB0_57 Depth=2
	s_or_b64 exec, exec, s[52:53]
.LBB0_65:                               ;   in Loop: Header=BB0_57 Depth=2
	s_or_b64 exec, exec, s[50:51]
	v_cmp_eq_u32_e32 vcc, v19, v17
	s_cbranch_vccz .LBB0_56
; %bb.66:                               ;   in Loop: Header=BB0_57 Depth=2
	s_ff1_i32_b64 s15, vcc
	v_and_or_b32 v17, v26, 64, s15
	v_lshlrev_b32_e32 v17, 2, v17
	ds_bpermute_b32 v18, v17, v20
	s_and_saveexec_b64 s[50:51], s[0:1]
	s_cbranch_execz .LBB0_55
; %bb.67:                               ;   in Loop: Header=BB0_57 Depth=2
	v_mul_lo_u32 v17, v16, s25
	s_waitcnt lgkmcnt(0)
	v_mul_lo_u32 v19, v18, s25
	s_mov_b64 s[52:53], 0
	v_mov_b32_e32 v27, v7
	v_mov_b32_e32 v18, v0
	s_branch .LBB0_69
.LBB0_68:                               ;   in Loop: Header=BB0_69 Depth=3
	v_add_u32_e32 v18, 64, v18
	v_cmp_le_i32_e32 vcc, s25, v18
	s_or_b64 s[52:53], vcc, s[52:53]
	v_add_u32_e32 v27, s64, v27
	s_andn2_b64 exec, exec, s[52:53]
	s_cbranch_execz .LBB0_55
.LBB0_69:                               ;   Parent Loop BB0_14 Depth=1
                                        ;     Parent Loop BB0_57 Depth=2
                                        ; =>    This Loop Header: Depth=3
                                        ;         Child Loop BB0_72 Depth 4
                                        ;           Child Loop BB0_74 Depth 5
	v_add_u32_e32 v20, v18, v19
	v_mul_lo_u32 v28, v20, s25
	s_mov_b32 s15, 0
	v_mov_b32_e32 v29, v23
	s_branch .LBB0_72
.LBB0_70:                               ;   in Loop: Header=BB0_72 Depth=4
	v_add_u32_e32 v20, s15, v28
.LBB0_71:                               ;   in Loop: Header=BB0_72 Depth=4
	v_ashrrev_i32_e32 v21, 31, v20
	v_lshlrev_b64 v[20:21], 2, v[20:21]
	v_mov_b32_e32 v31, s13
	v_add_co_u32_e32 v20, vcc, s12, v20
	v_addc_co_u32_e32 v21, vcc, v31, v21, vcc
	global_load_dword v31, v[20:21], off
	s_add_i32 s15, s15, 1
	s_cmp_eq_u32 s15, s25
	v_add_u32_e32 v29, 1, v29
	s_waitcnt vmcnt(0)
	v_sub_f32_e32 v30, v31, v30
	global_store_dword v[20:21], v30, off
	s_cbranch_scc1 .LBB0_68
.LBB0_72:                               ;   Parent Loop BB0_14 Depth=1
                                        ;     Parent Loop BB0_57 Depth=2
                                        ;       Parent Loop BB0_69 Depth=3
                                        ; =>      This Loop Header: Depth=4
                                        ;           Child Loop BB0_74 Depth 5
	v_add_u32_e32 v20, s15, v17
	v_mul_lo_u32 v31, v20, s25
	v_mov_b32_e32 v30, 0
	v_mov_b32_e32 v32, v29
	s_mov_b32 s56, 0
	s_branch .LBB0_74
.LBB0_73:                               ;   in Loop: Header=BB0_74 Depth=5
	v_ashrrev_i32_e32 v21, 31, v20
	v_lshlrev_b64 v[20:21], 2, v[20:21]
	v_mov_b32_e32 v34, s13
	v_add_co_u32_e32 v20, vcc, s12, v20
	v_addc_co_u32_e32 v21, vcc, v34, v21, vcc
	global_load_dword v20, v[20:21], off
	s_add_i32 s56, s56, 1
	s_cmp_eq_u32 s25, s56
	v_add_u32_e32 v32, s25, v32
	s_waitcnt vmcnt(0)
	v_fmac_f32_e32 v30, v33, v20
	s_cbranch_scc1 .LBB0_80
.LBB0_74:                               ;   Parent Loop BB0_14 Depth=1
                                        ;     Parent Loop BB0_57 Depth=2
                                        ;       Parent Loop BB0_69 Depth=3
                                        ;         Parent Loop BB0_72 Depth=4
                                        ; =>        This Inner Loop Header: Depth=5
	s_and_b64 vcc, exec, s[36:37]
	s_cbranch_vccz .LBB0_79
; %bb.75:                               ;   in Loop: Header=BB0_74 Depth=5
	v_add_u32_e32 v20, s56, v11
	v_mad_u64_u32 v[20:21], s[54:55], v20, s25, v[18:19]
	s_cbranch_execnz .LBB0_77
.LBB0_76:                               ;   in Loop: Header=BB0_74 Depth=5
	v_add_u32_e32 v20, s56, v27
.LBB0_77:                               ;   in Loop: Header=BB0_74 Depth=5
	v_ashrrev_i32_e32 v21, 31, v20
	v_lshlrev_b64 v[20:21], 2, v[20:21]
	v_mov_b32_e32 v33, s13
	v_add_co_u32_e32 v20, vcc, s12, v20
	v_addc_co_u32_e32 v21, vcc, v33, v21, vcc
	global_load_dword v33, v[20:21], off
	s_andn2_b64 vcc, exec, s[36:37]
	v_mov_b32_e32 v20, v32
	s_cbranch_vccnz .LBB0_73
; %bb.78:                               ;   in Loop: Header=BB0_74 Depth=5
	v_add_u32_e32 v20, s56, v31
	s_branch .LBB0_73
.LBB0_79:                               ;   in Loop: Header=BB0_74 Depth=5
                                        ; implicit-def: $vgpr20
	s_branch .LBB0_76
.LBB0_80:                               ;   in Loop: Header=BB0_72 Depth=4
	s_and_b64 vcc, exec, s[36:37]
	s_cbranch_vccz .LBB0_82
; %bb.81:                               ;   in Loop: Header=BB0_72 Depth=4
	v_add_u32_e32 v20, s15, v19
	v_mad_u64_u32 v[20:21], s[54:55], v20, s25, v[18:19]
	s_cbranch_execnz .LBB0_71
	s_branch .LBB0_70
.LBB0_82:                               ;   in Loop: Header=BB0_72 Depth=4
                                        ; implicit-def: $vgpr20
	s_branch .LBB0_70
.LBB0_83:
	s_or_b64 exec, exec, s[38:39]
	s_and_b64 s[6:7], s[40:41], exec
.LBB0_84:
	s_or_b64 exec, exec, s[30:31]
	v_ashrrev_i32_e32 v7, 31, v6
	v_lshlrev_b64 v[10:11], 2, v[6:7]
	v_mov_b32_e32 v3, s11
	v_add_co_u32_e32 v10, vcc, s10, v10
	v_addc_co_u32_e32 v11, vcc, v3, v11, vcc
	global_load_dword v3, v[10:11], off
	s_waitcnt lgkmcnt(0)
	s_cmp_gt_i32 s25, 0
	s_cselect_b64 s[8:9], -1, 0
	s_waitcnt vmcnt(0)
	v_subrev_u32_e32 v3, s24, v3
	v_cmp_eq_u32_e32 vcc, v3, v2
	s_and_b64 s[0:1], s[8:9], vcc
	s_and_saveexec_b64 s[10:11], s[0:1]
	s_cbranch_execz .LBB0_124
; %bb.85:
	s_cmp_eq_u64 s[16:17], 8
	v_cvt_f64_f32_e32 v[10:11], v25
	s_cselect_b64 vcc, -1, 0
	s_cmp_lg_u32 s26, 0
	v_mul_lo_u32 v3, v6, s25
	v_cndmask_b32_e64 v12, 0, 1, s[28:29]
	v_cndmask_b32_e32 v9, v11, v9, vcc
	v_cndmask_b32_e32 v8, v10, v8, vcc
	s_cselect_b64 s[14:15], -1, 0
	v_cmp_eq_u32_e64 s[0:1], 0, v0
	v_add3_u32 v7, v3, v0, 1
	s_lshl_b32 s27, s25, 6
	s_mov_b64 s[16:17], 0
	v_mov_b32_e32 v10, 0
	v_mov_b32_e32 v11, s13
	v_cmp_ne_u32_e64 s[2:3], 1, v12
	s_mov_b64 s[30:31], s[6:7]
                                        ; implicit-def: $sgpr28_sgpr29
	s_branch .LBB0_87
.LBB0_86:                               ;   in Loop: Header=BB0_87 Depth=1
	s_or_b64 exec, exec, s[4:5]
	v_cmp_eq_u32_e32 vcc, s25, v13
	s_or_b64 s[16:17], vcc, s[16:17]
	s_andn2_b64 s[4:5], s[28:29], exec
	s_and_b64 s[28:29], s[30:31], exec
	s_or_b64 s[28:29], s[4:5], s[28:29]
	v_mov_b32_e32 v10, v13
	s_andn2_b64 exec, exec, s[16:17]
	s_cbranch_execz .LBB0_123
.LBB0_87:                               ; =>This Loop Header: Depth=1
                                        ;     Child Loop BB0_97 Depth 2
                                        ;       Child Loop BB0_107 Depth 3
	v_add_u32_e32 v12, v10, v3
	v_mul_lo_u32 v18, v12, s25
	v_add_u32_e32 v12, v18, v10
	v_ashrrev_i32_e32 v13, 31, v12
	v_lshlrev_b64 v[12:13], 2, v[12:13]
	v_add_co_u32_e32 v12, vcc, s12, v12
	v_addc_co_u32_e32 v13, vcc, v11, v13, vcc
	global_load_dword v19, v[12:13], off
	s_and_b64 vcc, exec, s[2:3]
	s_cbranch_vccnz .LBB0_92
; %bb.88:                               ;   in Loop: Header=BB0_87 Depth=1
	s_waitcnt vmcnt(0)
	v_cmp_gt_f32_e32 vcc, 0, v19
	v_cndmask_b32_e64 v14, v19, -v19, vcc
	v_cvt_f64_f32_e32 v[14:15], v14
	v_cmp_ge_f64_e32 vcc, v[8:9], v[14:15]
	v_cndmask_b32_e32 v14, v19, v24, vcc
	s_and_saveexec_b64 s[4:5], s[0:1]
	s_cbranch_execz .LBB0_90
; %bb.89:                               ;   in Loop: Header=BB0_87 Depth=1
	global_store_dword v[12:13], v14, off
.LBB0_90:                               ;   in Loop: Header=BB0_87 Depth=1
	s_or_b64 exec, exec, s[4:5]
	s_mov_b64 s[4:5], -1
	s_mov_b64 s[34:35], 0
	s_cbranch_execz .LBB0_93
; %bb.91:                               ;   in Loop: Header=BB0_87 Depth=1
	s_waitcnt vmcnt(0)
	v_mov_b32_e32 v19, v14
                                        ; implicit-def: $sgpr38_sgpr39
                                        ; implicit-def: $vgpr13
	s_and_saveexec_b64 s[36:37], s[4:5]
	s_xor_b64 s[36:37], exec, s[36:37]
	s_cbranch_execz .LBB0_121
	s_branch .LBB0_94
.LBB0_92:                               ;   in Loop: Header=BB0_87 Depth=1
	s_mov_b64 s[4:5], 0
                                        ; implicit-def: $vgpr14
	s_mov_b64 s[34:35], 0
.LBB0_93:                               ;   in Loop: Header=BB0_87 Depth=1
	s_waitcnt vmcnt(0)
	v_cmp_neq_f32_e32 vcc, 0, v19
	s_andn2_b64 s[4:5], s[4:5], exec
	s_and_b64 s[36:37], vcc, exec
	s_mov_b64 s[34:35], -1
	s_or_b64 s[4:5], s[4:5], s[36:37]
                                        ; implicit-def: $sgpr38_sgpr39
                                        ; implicit-def: $vgpr13
	s_and_saveexec_b64 s[36:37], s[4:5]
	s_xor_b64 s[36:37], exec, s[36:37]
	s_cbranch_execz .LBB0_121
.LBB0_94:                               ;   in Loop: Header=BB0_87 Depth=1
	v_add_u32_e32 v13, 1, v10
	v_add_u32_e32 v12, v13, v0
	v_cmp_gt_i32_e32 vcc, s25, v12
	s_and_saveexec_b64 s[38:39], vcc
	s_cbranch_execz .LBB0_120
; %bb.95:                               ;   in Loop: Header=BB0_87 Depth=1
	v_add_u32_e32 v14, v7, v10
	v_cmp_gt_i32_e64 s[4:5], s25, v13
	v_mul_lo_u32 v20, s25, v14
	s_mov_b64 s[40:41], 0
	s_branch .LBB0_97
.LBB0_96:                               ;   in Loop: Header=BB0_97 Depth=2
	s_or_b64 exec, exec, s[42:43]
	v_add_u32_e32 v12, 64, v12
	v_cmp_le_i32_e32 vcc, s25, v12
	s_or_b64 s[40:41], vcc, s[40:41]
	v_add_u32_e32 v20, s27, v20
	s_andn2_b64 exec, exec, s[40:41]
	s_cbranch_execz .LBB0_120
.LBB0_97:                               ;   Parent Loop BB0_87 Depth=1
                                        ; =>  This Loop Header: Depth=2
                                        ;       Child Loop BB0_107 Depth 3
	s_and_b64 vcc, exec, s[14:15]
	v_add_u32_e32 v14, v12, v18
	s_cbranch_vccz .LBB0_118
; %bb.98:                               ;   in Loop: Header=BB0_97 Depth=2
	v_add_u32_e32 v16, v12, v18
	s_cbranch_execnz .LBB0_100
.LBB0_99:                               ;   in Loop: Header=BB0_97 Depth=2
	v_add_u32_e32 v15, v12, v3
	v_mad_u64_u32 v[16:17], s[42:43], v15, s25, v[10:11]
.LBB0_100:                              ;   in Loop: Header=BB0_97 Depth=2
	v_ashrrev_i32_e32 v17, 31, v16
	v_lshlrev_b64 v[16:17], 2, v[16:17]
	v_add_co_u32_e32 v16, vcc, s12, v16
	v_addc_co_u32_e32 v17, vcc, v11, v17, vcc
	global_load_dword v16, v[16:17], off
	s_and_b64 vcc, exec, s[14:15]
	s_cbranch_vccz .LBB0_119
; %bb.101:                              ;   in Loop: Header=BB0_97 Depth=2
	s_cbranch_execnz .LBB0_103
.LBB0_102:                              ;   in Loop: Header=BB0_97 Depth=2
	v_add_u32_e32 v14, v12, v3
	v_mad_u64_u32 v[14:15], s[42:43], v14, s25, v[10:11]
.LBB0_103:                              ;   in Loop: Header=BB0_97 Depth=2
	s_waitcnt vmcnt(0)
	v_div_scale_f32 v15, s[42:43], v19, v19, v16
	v_rcp_f32_e32 v17, v15
	v_div_scale_f32 v21, vcc, v16, v19, v16
	v_fma_f32 v22, -v15, v17, 1.0
	v_fmac_f32_e32 v17, v22, v17
	v_mul_f32_e32 v22, v21, v17
	v_fma_f32 v23, -v15, v22, v21
	v_fmac_f32_e32 v22, v23, v17
	v_fma_f32 v15, -v15, v22, v21
	v_div_fmas_f32 v15, v15, v17, v22
	v_div_fixup_f32 v16, v15, v19, v16
	v_ashrrev_i32_e32 v15, 31, v14
	v_lshlrev_b64 v[14:15], 2, v[14:15]
	v_add_co_u32_e32 v14, vcc, s12, v14
	v_addc_co_u32_e32 v15, vcc, v11, v15, vcc
	global_store_dword v[14:15], v16, off
	s_and_saveexec_b64 s[42:43], s[4:5]
	s_cbranch_execz .LBB0_96
; %bb.104:                              ;   in Loop: Header=BB0_97 Depth=2
	s_mov_b64 s[44:45], 0
	v_mov_b32_e32 v17, v13
	s_branch .LBB0_107
.LBB0_105:                              ;   in Loop: Header=BB0_107 Depth=3
	v_add_u32_e32 v14, v20, v17
.LBB0_106:                              ;   in Loop: Header=BB0_107 Depth=3
	v_ashrrev_i32_e32 v15, 31, v14
	v_lshlrev_b64 v[14:15], 2, v[14:15]
	s_waitcnt vmcnt(0)
	v_fma_f32 v21, -v16, v22, v23
	v_mov_b32_e32 v22, s13
	v_add_co_u32_e32 v14, vcc, s12, v14
	v_addc_co_u32_e32 v15, vcc, v22, v15, vcc
	v_add_u32_e32 v17, 1, v17
	v_cmp_le_i32_e32 vcc, s25, v17
	s_or_b64 s[44:45], vcc, s[44:45]
	global_store_dword v[14:15], v21, off
	s_andn2_b64 exec, exec, s[44:45]
	s_cbranch_execz .LBB0_96
.LBB0_107:                              ;   Parent Loop BB0_87 Depth=1
                                        ;     Parent Loop BB0_97 Depth=2
                                        ; =>    This Inner Loop Header: Depth=3
	s_and_b64 vcc, exec, s[14:15]
	v_add_u32_e32 v21, v17, v3
	s_cbranch_vccz .LBB0_115
; %bb.108:                              ;   in Loop: Header=BB0_107 Depth=3
	v_mad_u64_u32 v[14:15], s[46:47], v21, s25, v[10:11]
	s_cbranch_execnz .LBB0_110
.LBB0_109:                              ;   in Loop: Header=BB0_107 Depth=3
	v_add_u32_e32 v14, v18, v17
.LBB0_110:                              ;   in Loop: Header=BB0_107 Depth=3
	v_ashrrev_i32_e32 v15, 31, v14
	v_lshlrev_b64 v[14:15], 2, v[14:15]
	v_mov_b32_e32 v22, s13
	v_add_co_u32_e32 v14, vcc, s12, v14
	v_addc_co_u32_e32 v15, vcc, v22, v15, vcc
	global_load_dword v22, v[14:15], off
	s_and_b64 vcc, exec, s[14:15]
	s_cbranch_vccz .LBB0_116
; %bb.111:                              ;   in Loop: Header=BB0_107 Depth=3
	v_mad_u64_u32 v[14:15], s[46:47], v21, s25, v[12:13]
	s_cbranch_execnz .LBB0_113
.LBB0_112:                              ;   in Loop: Header=BB0_107 Depth=3
	v_add_u32_e32 v14, v20, v17
.LBB0_113:                              ;   in Loop: Header=BB0_107 Depth=3
	v_ashrrev_i32_e32 v15, 31, v14
	v_lshlrev_b64 v[14:15], 2, v[14:15]
	v_mov_b32_e32 v23, s13
	v_add_co_u32_e32 v14, vcc, s12, v14
	v_addc_co_u32_e32 v15, vcc, v23, v15, vcc
	global_load_dword v23, v[14:15], off
	s_and_b64 vcc, exec, s[14:15]
	s_cbranch_vccz .LBB0_117
; %bb.114:                              ;   in Loop: Header=BB0_107 Depth=3
	v_mad_u64_u32 v[14:15], s[46:47], v21, s25, v[12:13]
	s_cbranch_execnz .LBB0_106
	s_branch .LBB0_105
.LBB0_115:                              ;   in Loop: Header=BB0_107 Depth=3
                                        ; implicit-def: $vgpr14
	s_branch .LBB0_109
.LBB0_116:                              ;   in Loop: Header=BB0_107 Depth=3
                                        ; implicit-def: $vgpr14
	s_branch .LBB0_112
.LBB0_117:                              ;   in Loop: Header=BB0_107 Depth=3
                                        ; implicit-def: $vgpr14
	s_branch .LBB0_105
.LBB0_118:                              ;   in Loop: Header=BB0_97 Depth=2
                                        ; implicit-def: $vgpr16
	s_branch .LBB0_99
.LBB0_119:                              ;   in Loop: Header=BB0_97 Depth=2
                                        ; implicit-def: $vgpr14
	s_branch .LBB0_102
.LBB0_120:                              ;   in Loop: Header=BB0_87 Depth=1
	s_or_b64 exec, exec, s[38:39]
	s_and_b64 s[38:39], s[30:31], exec
	s_andn2_b64 s[34:35], s[34:35], exec
.LBB0_121:                              ;   in Loop: Header=BB0_87 Depth=1
	s_or_b64 exec, exec, s[36:37]
	s_andn2_b64 s[4:5], s[30:31], exec
	s_and_b64 s[30:31], s[38:39], exec
	s_or_b64 s[30:31], s[4:5], s[30:31]
	s_and_saveexec_b64 s[4:5], s[34:35]
	s_cbranch_execz .LBB0_86
; %bb.122:                              ;   in Loop: Header=BB0_87 Depth=1
	v_add_u32_e32 v13, 1, v10
	s_or_b64 s[30:31], s[30:31], exec
	s_branch .LBB0_86
.LBB0_123:
	s_or_b64 exec, exec, s[16:17]
	s_andn2_b64 s[0:1], s[6:7], exec
	s_and_b64 s[2:3], s[28:29], exec
	s_or_b64 s[6:7], s[0:1], s[2:3]
.LBB0_124:
	s_or_b64 exec, exec, s[10:11]
	v_add_u32_e32 v3, 1, v6
	v_cmp_lt_i32_e32 vcc, v3, v1
	s_and_saveexec_b64 s[10:11], vcc
	s_cbranch_execz .LBB0_148
; %bb.125:
	v_mul_lo_u32 v10, v6, s25
	v_mul_lo_u32 v6, s25, v10
	s_mul_i32 s31, s25, s25
	v_add_u32_e32 v11, s25, v6
	v_mul_lo_u32 v6, s31, v3
	s_cmp_lg_u32 s26, 0
	v_add3_u32 v12, v6, s25, v0
	v_cndmask_b32_e64 v6, 0, 1, s[8:9]
	v_cmp_gt_i32_e64 s[0:1], s25, v0
	s_cselect_b64 s[14:15], -1, 0
	s_add_i32 s30, s25, 1
	s_mov_b64 s[16:17], 0
	v_cmp_ne_u32_e64 s[2:3], 1, v6
	s_branch .LBB0_127
.LBB0_126:                              ;   in Loop: Header=BB0_127 Depth=1
	v_add_u32_e32 v3, 1, v3
	v_cmp_ge_i32_e32 vcc, v3, v1
	s_or_b64 s[16:17], vcc, s[16:17]
	v_add_u32_e32 v12, s31, v12
	s_andn2_b64 exec, exec, s[16:17]
	s_cbranch_execz .LBB0_148
.LBB0_127:                              ; =>This Loop Header: Depth=1
                                        ;     Child Loop BB0_130 Depth 2
                                        ;       Child Loop BB0_133 Depth 3
                                        ;         Child Loop BB0_137 Depth 4
	s_and_b64 vcc, exec, s[2:3]
	s_cbranch_vccnz .LBB0_126
; %bb.128:                              ;   in Loop: Header=BB0_127 Depth=1
	v_mul_lo_u32 v13, v3, s25
	s_mov_b32 s33, 0
	v_mov_b32_e32 v14, v12
	v_mov_b32_e32 v15, v11
	s_branch .LBB0_130
.LBB0_129:                              ;   in Loop: Header=BB0_130 Depth=2
	s_or_b64 exec, exec, s[8:9]
	v_add_u32_e32 v15, s30, v15
	v_add_u32_e32 v14, s25, v14
	s_cmp_eq_u32 s34, s25
	s_mov_b32 s33, s34
	s_cbranch_scc1 .LBB0_126
.LBB0_130:                              ;   Parent Loop BB0_127 Depth=1
                                        ; =>  This Loop Header: Depth=2
                                        ;       Child Loop BB0_133 Depth 3
                                        ;         Child Loop BB0_137 Depth 4
	s_add_i32 s34, s33, 1
	s_and_saveexec_b64 s[8:9], s[0:1]
	s_cbranch_execz .LBB0_129
; %bb.131:                              ;   in Loop: Header=BB0_130 Depth=2
	s_cmp_lt_i32 s34, s25
	v_add_u32_e32 v6, s33, v10
	v_mul_lo_u32 v16, v6, s25
	v_add_u32_e32 v6, s33, v13
	s_cselect_b64 s[4:5], -1, 0
	v_mul_lo_u32 v17, v6, s25
	v_cndmask_b32_e64 v6, 0, 1, s[4:5]
	s_mov_b64 s[26:27], 0
	v_cmp_ne_u32_e64 s[4:5], 1, v6
	v_mov_b32_e32 v18, v14
	v_mov_b32_e32 v19, v0
	s_branch .LBB0_133
.LBB0_132:                              ;   in Loop: Header=BB0_133 Depth=3
	v_add_u32_e32 v19, 64, v19
	v_cmp_le_i32_e32 vcc, s25, v19
	s_or_b64 s[26:27], vcc, s[26:27]
	v_add_u32_e32 v18, 64, v18
	s_andn2_b64 exec, exec, s[26:27]
	s_cbranch_execz .LBB0_129
.LBB0_133:                              ;   Parent Loop BB0_127 Depth=1
                                        ;     Parent Loop BB0_130 Depth=2
                                        ; =>    This Loop Header: Depth=3
                                        ;         Child Loop BB0_137 Depth 4
	s_and_b64 vcc, exec, s[4:5]
	s_cbranch_vccnz .LBB0_132
; %bb.134:                              ;   in Loop: Header=BB0_133 Depth=3
	v_add_u32_e32 v6, v19, v13
	v_mul_lo_u32 v20, v6, s25
	v_add_u32_e32 v21, s33, v20
	v_add_u32_e32 v22, v19, v17
	s_mov_b32 s35, 0
	s_mov_b32 s36, s34
	s_branch .LBB0_137
.LBB0_135:                              ;   in Loop: Header=BB0_137 Depth=4
	v_mov_b32_e32 v6, v24
.LBB0_136:                              ;   in Loop: Header=BB0_137 Depth=4
	s_waitcnt vmcnt(0)
	v_fma_f32 v8, -v7, v23, v8
	v_ashrrev_i32_e32 v7, 31, v6
	v_lshlrev_b64 v[6:7], 2, v[6:7]
	v_mov_b32_e32 v9, s13
	v_add_co_u32_e32 v6, vcc, s12, v6
	s_add_i32 s36, s36, 1
	s_add_i32 s35, s35, s25
	v_addc_co_u32_e32 v7, vcc, v9, v7, vcc
	s_cmp_ge_i32 s36, s25
	global_store_dword v[6:7], v8, off
	s_cbranch_scc1 .LBB0_132
.LBB0_137:                              ;   Parent Loop BB0_127 Depth=1
                                        ;     Parent Loop BB0_130 Depth=2
                                        ;       Parent Loop BB0_133 Depth=3
                                        ; =>      This Inner Loop Header: Depth=4
	s_and_b64 vcc, exec, s[14:15]
	s_cbranch_vccz .LBB0_145
; %bb.138:                              ;   in Loop: Header=BB0_137 Depth=4
	v_add_u32_e32 v6, s36, v16
	v_mov_b32_e32 v8, v21
	s_cbranch_execnz .LBB0_140
.LBB0_139:                              ;   in Loop: Header=BB0_137 Depth=4
	v_add_u32_e32 v6, s35, v15
	v_mov_b32_e32 v8, v22
.LBB0_140:                              ;   in Loop: Header=BB0_137 Depth=4
	v_ashrrev_i32_e32 v7, 31, v6
	v_lshlrev_b64 v[6:7], 2, v[6:7]
	v_mov_b32_e32 v9, s13
	v_add_co_u32_e32 v24, vcc, s12, v6
	v_addc_co_u32_e32 v25, vcc, v9, v7, vcc
	v_ashrrev_i32_e32 v9, 31, v8
	v_lshlrev_b64 v[6:7], 2, v[8:9]
	v_mov_b32_e32 v9, s13
	v_add_co_u32_e32 v8, vcc, s12, v6
	v_addc_co_u32_e32 v9, vcc, v9, v7, vcc
	global_load_dword v7, v[24:25], off
	global_load_dword v23, v[8:9], off
	s_and_b64 vcc, exec, s[14:15]
	v_add_u32_e32 v6, s36, v20
	s_cbranch_vccz .LBB0_146
; %bb.141:                              ;   in Loop: Header=BB0_137 Depth=4
	v_add_u32_e32 v8, s36, v20
	v_add_u32_e32 v24, s35, v18
	s_cbranch_execnz .LBB0_143
.LBB0_142:                              ;   in Loop: Header=BB0_137 Depth=4
	v_add_u32_e32 v8, s35, v18
.LBB0_143:                              ;   in Loop: Header=BB0_137 Depth=4
	v_ashrrev_i32_e32 v9, 31, v8
	v_lshlrev_b64 v[8:9], 2, v[8:9]
	v_mov_b32_e32 v25, s13
	v_add_co_u32_e32 v8, vcc, s12, v8
	v_addc_co_u32_e32 v9, vcc, v25, v9, vcc
	global_load_dword v8, v[8:9], off
	s_and_b64 vcc, exec, s[14:15]
	s_cbranch_vccz .LBB0_147
; %bb.144:                              ;   in Loop: Header=BB0_137 Depth=4
	s_cbranch_execnz .LBB0_136
	s_branch .LBB0_135
.LBB0_145:                              ;   in Loop: Header=BB0_137 Depth=4
                                        ; implicit-def: $vgpr6
	v_mov_b32_e32 v8, v21
	s_branch .LBB0_139
.LBB0_146:                              ;   in Loop: Header=BB0_137 Depth=4
                                        ; implicit-def: $vgpr8
	v_add_u32_e32 v24, s35, v18
	s_branch .LBB0_142
.LBB0_147:                              ;   in Loop: Header=BB0_137 Depth=4
                                        ; implicit-def: $vgpr6
	s_branch .LBB0_135
.LBB0_148:
	s_or_b64 exec, exec, s[10:11]
	s_orn2_b64 s[0:1], s[6:7], exec
.LBB0_149:
	s_or_b64 exec, exec, s[22:23]
	v_cmp_eq_u32_e32 vcc, 0, v0
	s_and_b64 exec, exec, vcc
	s_cbranch_execz .LBB0_155
; %bb.150:
	v_mov_b32_e32 v1, s21
	v_add_co_u32_e32 v0, vcc, s20, v4
	v_addc_co_u32_e32 v1, vcc, v1, v5, vcc
	v_mov_b32_e32 v3, 1
	s_waitcnt vmcnt(0)
	global_store_dword v[0:1], v3, off
	s_and_b64 exec, exec, s[0:1]
	s_cbranch_execz .LBB0_155
; %bb.151:
	s_mov_b64 s[0:1], exec
	v_add_u32_e32 v0, s24, v2
	s_brev_b32 s2, -2
.LBB0_152:                              ; =>This Inner Loop Header: Depth=1
	s_ff1_i32_b64 s3, s[0:1]
	v_readlane_b32 s6, v0, s3
	s_lshl_b64 s[4:5], 1, s3
	s_min_i32 s2, s2, s6
	s_andn2_b64 s[0:1], s[0:1], s[4:5]
	s_cmp_lg_u64 s[0:1], 0
	s_cbranch_scc1 .LBB0_152
; %bb.153:
	v_mbcnt_lo_u32_b32 v0, exec_lo, 0
	v_mbcnt_hi_u32_b32 v0, exec_hi, v0
	v_cmp_eq_u32_e32 vcc, 0, v0
	s_and_saveexec_b64 s[0:1], vcc
	s_xor_b64 s[0:1], exec, s[0:1]
	s_cbranch_execz .LBB0_155
; %bb.154:
	v_mov_b32_e32 v0, 0
	v_mov_b32_e32 v1, s2
	global_atomic_smin v0, v1, s[18:19]
.LBB0_155:
	s_endpgm
	.section	.rodata,"a",@progbits
	.p2align	6, 0x0
	.amdhsa_kernel _ZN9rocsparseL15bsrilu0_generalILj128ELj64ELb1EfEEv20rocsparse_direction_iPKiS3_PT2_S3_iPiS3_S6_21rocsparse_index_base_imNS_24const_host_device_scalarIfEENS8_IdEENS8_IS4_EEb
		.amdhsa_group_segment_fixed_size 0
		.amdhsa_private_segment_fixed_size 0
		.amdhsa_kernarg_size 116
		.amdhsa_user_sgpr_count 6
		.amdhsa_user_sgpr_private_segment_buffer 1
		.amdhsa_user_sgpr_dispatch_ptr 0
		.amdhsa_user_sgpr_queue_ptr 0
		.amdhsa_user_sgpr_kernarg_segment_ptr 1
		.amdhsa_user_sgpr_dispatch_id 0
		.amdhsa_user_sgpr_flat_scratch_init 0
		.amdhsa_user_sgpr_kernarg_preload_length 0
		.amdhsa_user_sgpr_kernarg_preload_offset 0
		.amdhsa_user_sgpr_private_segment_size 0
		.amdhsa_uses_dynamic_stack 0
		.amdhsa_system_sgpr_private_segment_wavefront_offset 0
		.amdhsa_system_sgpr_workgroup_id_x 1
		.amdhsa_system_sgpr_workgroup_id_y 0
		.amdhsa_system_sgpr_workgroup_id_z 0
		.amdhsa_system_sgpr_workgroup_info 0
		.amdhsa_system_vgpr_workitem_id 0
		.amdhsa_next_free_vgpr 37
		.amdhsa_next_free_sgpr 65
		.amdhsa_accum_offset 40
		.amdhsa_reserve_vcc 1
		.amdhsa_reserve_flat_scratch 0
		.amdhsa_float_round_mode_32 0
		.amdhsa_float_round_mode_16_64 0
		.amdhsa_float_denorm_mode_32 3
		.amdhsa_float_denorm_mode_16_64 3
		.amdhsa_dx10_clamp 1
		.amdhsa_ieee_mode 1
		.amdhsa_fp16_overflow 0
		.amdhsa_tg_split 0
		.amdhsa_exception_fp_ieee_invalid_op 0
		.amdhsa_exception_fp_denorm_src 0
		.amdhsa_exception_fp_ieee_div_zero 0
		.amdhsa_exception_fp_ieee_overflow 0
		.amdhsa_exception_fp_ieee_underflow 0
		.amdhsa_exception_fp_ieee_inexact 0
		.amdhsa_exception_int_div_zero 0
	.end_amdhsa_kernel
	.section	.text._ZN9rocsparseL15bsrilu0_generalILj128ELj64ELb1EfEEv20rocsparse_direction_iPKiS3_PT2_S3_iPiS3_S6_21rocsparse_index_base_imNS_24const_host_device_scalarIfEENS8_IdEENS8_IS4_EEb,"axG",@progbits,_ZN9rocsparseL15bsrilu0_generalILj128ELj64ELb1EfEEv20rocsparse_direction_iPKiS3_PT2_S3_iPiS3_S6_21rocsparse_index_base_imNS_24const_host_device_scalarIfEENS8_IdEENS8_IS4_EEb,comdat
.Lfunc_end0:
	.size	_ZN9rocsparseL15bsrilu0_generalILj128ELj64ELb1EfEEv20rocsparse_direction_iPKiS3_PT2_S3_iPiS3_S6_21rocsparse_index_base_imNS_24const_host_device_scalarIfEENS8_IdEENS8_IS4_EEb, .Lfunc_end0-_ZN9rocsparseL15bsrilu0_generalILj128ELj64ELb1EfEEv20rocsparse_direction_iPKiS3_PT2_S3_iPiS3_S6_21rocsparse_index_base_imNS_24const_host_device_scalarIfEENS8_IdEENS8_IS4_EEb
                                        ; -- End function
	.section	.AMDGPU.csdata,"",@progbits
; Kernel info:
; codeLenInByte = 3888
; NumSgprs: 69
; NumVgprs: 37
; NumAgprs: 0
; TotalNumVgprs: 37
; ScratchSize: 0
; MemoryBound: 0
; FloatMode: 240
; IeeeMode: 1
; LDSByteSize: 0 bytes/workgroup (compile time only)
; SGPRBlocks: 8
; VGPRBlocks: 4
; NumSGPRsForWavesPerEU: 69
; NumVGPRsForWavesPerEU: 37
; AccumOffset: 40
; Occupancy: 8
; WaveLimiterHint : 1
; COMPUTE_PGM_RSRC2:SCRATCH_EN: 0
; COMPUTE_PGM_RSRC2:USER_SGPR: 6
; COMPUTE_PGM_RSRC2:TRAP_HANDLER: 0
; COMPUTE_PGM_RSRC2:TGID_X_EN: 1
; COMPUTE_PGM_RSRC2:TGID_Y_EN: 0
; COMPUTE_PGM_RSRC2:TGID_Z_EN: 0
; COMPUTE_PGM_RSRC2:TIDIG_COMP_CNT: 0
; COMPUTE_PGM_RSRC3_GFX90A:ACCUM_OFFSET: 9
; COMPUTE_PGM_RSRC3_GFX90A:TG_SPLIT: 0
	.section	.text._ZN9rocsparseL15bsrilu0_generalILj128ELj32ELb0EfEEv20rocsparse_direction_iPKiS3_PT2_S3_iPiS3_S6_21rocsparse_index_base_imNS_24const_host_device_scalarIfEENS8_IdEENS8_IS4_EEb,"axG",@progbits,_ZN9rocsparseL15bsrilu0_generalILj128ELj32ELb0EfEEv20rocsparse_direction_iPKiS3_PT2_S3_iPiS3_S6_21rocsparse_index_base_imNS_24const_host_device_scalarIfEENS8_IdEENS8_IS4_EEb,comdat
	.globl	_ZN9rocsparseL15bsrilu0_generalILj128ELj32ELb0EfEEv20rocsparse_direction_iPKiS3_PT2_S3_iPiS3_S6_21rocsparse_index_base_imNS_24const_host_device_scalarIfEENS8_IdEENS8_IS4_EEb ; -- Begin function _ZN9rocsparseL15bsrilu0_generalILj128ELj32ELb0EfEEv20rocsparse_direction_iPKiS3_PT2_S3_iPiS3_S6_21rocsparse_index_base_imNS_24const_host_device_scalarIfEENS8_IdEENS8_IS4_EEb
	.p2align	8
	.type	_ZN9rocsparseL15bsrilu0_generalILj128ELj32ELb0EfEEv20rocsparse_direction_iPKiS3_PT2_S3_iPiS3_S6_21rocsparse_index_base_imNS_24const_host_device_scalarIfEENS8_IdEENS8_IS4_EEb,@function
_ZN9rocsparseL15bsrilu0_generalILj128ELj32ELb0EfEEv20rocsparse_direction_iPKiS3_PT2_S3_iPiS3_S6_21rocsparse_index_base_imNS_24const_host_device_scalarIfEENS8_IdEENS8_IS4_EEb: ; @_ZN9rocsparseL15bsrilu0_generalILj128ELj32ELb0EfEEv20rocsparse_direction_iPKiS3_PT2_S3_iPiS3_S6_21rocsparse_index_base_imNS_24const_host_device_scalarIfEENS8_IdEENS8_IS4_EEb
; %bb.0:
	s_load_dword s0, s[4:5], 0x70
	s_load_dwordx2 s[28:29], s[4:5], 0x48
	s_load_dwordx8 s[20:27], s[4:5], 0x50
	s_waitcnt lgkmcnt(0)
	s_bitcmp1_b32 s0, 0
	s_cselect_b64 s[0:1], -1, 0
	s_cmp_lg_u32 s29, 0
	s_cselect_b64 s[34:35], -1, 0
	s_cmp_eq_u32 s29, 0
	s_cselect_b64 s[2:3], -1, 0
	s_and_b64 s[8:9], s[2:3], exec
	s_cselect_b32 s10, 0, s24
	s_cselect_b32 s11, 0, s25
	s_or_b64 s[0:1], s[2:3], s[0:1]
	s_xor_b64 s[8:9], s[0:1], -1
	s_and_b64 vcc, exec, s[0:1]
	s_cbranch_vccnz .LBB1_2
; %bb.1:
	s_load_dword s0, s[22:23], 0x0
	s_mov_b64 s[10:11], s[24:25]
	s_waitcnt lgkmcnt(0)
	v_mov_b32_e32 v25, s0
	s_branch .LBB1_3
.LBB1_2:
	v_mov_b32_e32 v1, s22
	v_cndmask_b32_e64 v25, v1, 0, s[2:3]
.LBB1_3:
	v_cndmask_b32_e64 v1, 0, 1, s[8:9]
	v_cmp_ne_u32_e64 s[0:1], 1, v1
	s_andn2_b64 vcc, exec, s[8:9]
	v_pk_mov_b32 v[8:9], s[10:11], s[10:11] op_sel:[0,1]
	s_cbranch_vccnz .LBB1_5
; %bb.4:
	v_pk_mov_b32 v[2:3], s[24:25], s[24:25] op_sel:[0,1]
	flat_load_dwordx2 v[8:9], v[2:3]
.LBB1_5:
	s_and_b64 vcc, exec, s[0:1]
	s_cbranch_vccnz .LBB1_7
; %bb.6:
	s_load_dword s0, s[26:27], 0x0
	s_waitcnt lgkmcnt(0)
	v_mov_b32_e32 v24, s0
	s_branch .LBB1_8
.LBB1_7:
	v_mov_b32_e32 v1, s26
	v_cndmask_b32_e64 v24, v1, 0, s[2:3]
.LBB1_8:
	s_load_dwordx2 s[30:31], s[4:5], 0x0
	s_lshl_b32 s0, s6, 2
	v_lshrrev_b32_e32 v1, 5, v0
	s_and_b32 s0, s0, 0x7fffffc
	v_or_b32_e32 v1, s0, v1
	s_waitcnt lgkmcnt(0)
	v_cmp_gt_i32_e32 vcc, s31, v1
	s_and_saveexec_b64 s[0:1], vcc
	s_cbranch_execz .LBB1_153
; %bb.9:
	s_load_dwordx4 s[24:27], s[4:5], 0x30
	s_load_dwordx2 s[22:23], s[4:5], 0x40
	v_lshlrev_b32_e32 v1, 2, v1
	s_load_dwordx8 s[12:19], s[4:5], 0x8
	v_and_b32_e32 v0, 31, v0
	s_waitcnt lgkmcnt(0)
	global_load_dword v2, v1, s[26:27]
	s_mov_b64 s[0:1], -1
	v_mov_b32_e32 v1, s19
	s_waitcnt vmcnt(0)
	v_ashrrev_i32_e32 v3, 31, v2
	v_lshlrev_b64 v[4:5], 2, v[2:3]
	v_add_co_u32_e32 v6, vcc, s18, v4
	v_addc_co_u32_e32 v7, vcc, v1, v5, vcc
	global_load_dword v6, v[6:7], off
	s_waitcnt vmcnt(0)
	v_cmp_ne_u32_e32 vcc, -1, v6
	s_and_saveexec_b64 s[26:27], vcc
	s_cbranch_execz .LBB1_147
; %bb.10:
	v_mov_b32_e32 v1, s13
	v_add_co_u32_e32 v10, vcc, s12, v4
	v_addc_co_u32_e32 v11, vcc, v1, v5, vcc
	global_load_dwordx2 v[10:11], v[10:11], off
	s_load_dword s29, s[4:5], 0x28
	s_mov_b64 s[6:7], 0
	s_waitcnt vmcnt(0)
	v_subrev_u32_e32 v10, s28, v10
	v_subrev_u32_e32 v1, s28, v11
	v_cmp_lt_i32_e32 vcc, v10, v6
	s_and_saveexec_b64 s[36:37], vcc
	s_cbranch_execz .LBB1_82
; %bb.11:
	s_waitcnt lgkmcnt(0)
	s_cmp_gt_i32 s29, 0
	s_cselect_b64 s[6:7], -1, 0
	s_cmp_lg_u32 s30, 0
	s_cselect_b64 s[38:39], -1, 0
	v_add_u32_e32 v12, v10, v0
	s_add_i32 s31, s31, 1
	v_ashrrev_i32_e32 v13, 31, v12
	s_add_u32 s33, s12, 4
	v_lshlrev_b64 v[14:15], 2, v[12:13]
	s_addc_u32 s60, s13, 0
	v_cndmask_b32_e64 v11, 0, 1, s[6:7]
	v_mov_b32_e32 v3, s15
	v_add_co_u32_e32 v14, vcc, s14, v14
	s_add_u32 s61, s14, 0x80
	v_mad_u64_u32 v[16:17], s[8:9], s29, v10, v[0:1]
	v_cmp_ne_u32_e64 s[6:7], 1, v11
	v_mbcnt_lo_u32_b32 v11, -1, 0
	v_cmp_gt_i32_e64 s[0:1], s29, v0
	v_cmp_le_i32_e64 s[2:3], s29, v0
	v_cmp_lt_i32_e64 s[4:5], v12, v1
	v_addc_co_u32_e32 v15, vcc, v3, v15, vcc
	s_addc_u32 s62, s15, 0
	v_mul_lo_u32 v7, s29, v16
	s_mul_i32 s63, s29, s29
	s_lshl_b32 s64, s29, 5
	s_mov_b64 s[44:45], 0
	s_mov_b64 s[12:13], 0
	v_mov_b32_e32 v13, s19
	v_mbcnt_hi_u32_b32 v26, -1, v11
                                        ; implicit-def: $sgpr40_sgpr41
                                        ; implicit-def: $sgpr42_sgpr43
	s_branch .LBB1_14
.LBB1_12:                               ;   in Loop: Header=BB1_14 Depth=1
	s_or_b64 exec, exec, s[10:11]
	s_andn2_b64 s[10:11], s[42:43], exec
	s_and_b64 s[42:43], s[44:45], exec
	s_or_b64 s[42:43], s[10:11], s[42:43]
.LBB1_13:                               ;   in Loop: Header=BB1_14 Depth=1
	s_or_b64 exec, exec, s[46:47]
	v_add_u32_e32 v10, 1, v10
	v_cmp_ge_i32_e32 vcc, v10, v6
	s_xor_b64 s[8:9], s[8:9], -1
	s_or_b64 s[8:9], s[8:9], vcc
	s_and_b64 s[8:9], exec, s[8:9]
	s_or_b64 s[12:13], s[8:9], s[12:13]
	s_andn2_b64 s[8:9], s[40:41], exec
	s_and_b64 s[10:11], s[42:43], exec
	v_add_u32_e32 v7, s63, v7
	s_or_b64 s[40:41], s[8:9], s[10:11]
	s_mov_b64 s[44:45], s[42:43]
	s_andn2_b64 exec, exec, s[12:13]
	s_cbranch_execz .LBB1_81
.LBB1_14:                               ; =>This Loop Header: Depth=1
                                        ;     Child Loop BB1_17 Depth 2
                                        ;     Child Loop BB1_22 Depth 2
                                        ;       Child Loop BB1_27 Depth 3
                                        ;         Child Loop BB1_37 Depth 4
                                        ;     Child Loop BB1_55 Depth 2
                                        ;       Child Loop BB1_60 Depth 3
                                        ;       Child Loop BB1_67 Depth 3
                                        ;         Child Loop BB1_70 Depth 4
                                        ;           Child Loop BB1_72 Depth 5
	v_ashrrev_i32_e32 v11, 31, v10
	v_lshlrev_b64 v[16:17], 2, v[10:11]
	v_add_co_u32_e32 v16, vcc, s14, v16
	v_addc_co_u32_e32 v17, vcc, v3, v17, vcc
	global_load_dword v11, v[16:17], off
	s_or_b64 s[42:43], s[42:43], exec
	s_waitcnt vmcnt(0)
	v_subrev_u32_e32 v16, s28, v11
	v_ashrrev_i32_e32 v17, 31, v16
	v_lshlrev_b64 v[16:17], 2, v[16:17]
	s_waitcnt lgkmcnt(0)
	v_add_co_u32_e32 v18, vcc, s18, v16
	v_addc_co_u32_e32 v19, vcc, v13, v17, vcc
	global_load_dword v19, v[18:19], off
	s_waitcnt vmcnt(0)
	v_cmp_ne_u32_e64 s[8:9], -1, v19
	s_and_saveexec_b64 s[46:47], s[8:9]
	s_cbranch_execz .LBB1_13
; %bb.15:                               ;   in Loop: Header=BB1_14 Depth=1
	v_mov_b32_e32 v11, s60
	v_add_co_u32_e32 v20, vcc, s33, v16
	v_addc_co_u32_e32 v21, vcc, v11, v17, vcc
	v_mov_b32_e32 v11, s25
	v_add_co_u32_e32 v16, vcc, s24, v16
	v_addc_co_u32_e32 v17, vcc, v11, v17, vcc
	global_load_dword v27, v[20:21], off
	global_load_dword v11, v[16:17], off glc
	s_waitcnt vmcnt(0)
	v_cmp_eq_u32_e32 vcc, 0, v11
	s_and_saveexec_b64 s[10:11], vcc
	s_cbranch_execz .LBB1_18
; %bb.16:                               ;   in Loop: Header=BB1_14 Depth=1
	s_mov_b64 s[48:49], 0
.LBB1_17:                               ;   Parent Loop BB1_14 Depth=1
                                        ; =>  This Inner Loop Header: Depth=2
	global_load_dword v11, v[16:17], off glc
	s_waitcnt vmcnt(0)
	v_cmp_ne_u32_e32 vcc, 0, v11
	s_or_b64 s[48:49], vcc, s[48:49]
	s_andn2_b64 exec, exec, s[48:49]
	s_cbranch_execnz .LBB1_17
.LBB1_18:                               ;   in Loop: Header=BB1_14 Depth=1
	s_or_b64 exec, exec, s[10:11]
	s_and_b64 vcc, exec, s[6:7]
	v_mul_lo_u32 v11, v10, s29
	buffer_wbinvl1_vol
	s_cbranch_vccnz .LBB1_51
; %bb.19:                               ;   in Loop: Header=BB1_14 Depth=1
	v_mul_lo_u32 v17, v19, s29
	s_mov_b64 s[48:49], 0
	v_mov_b32_e32 v16, 0
	s_branch .LBB1_22
.LBB1_20:                               ;   in Loop: Header=BB1_22 Depth=2
	s_or_b64 exec, exec, s[52:53]
	v_mov_b32_e32 v16, v28
.LBB1_21:                               ;   in Loop: Header=BB1_22 Depth=2
	s_or_b64 exec, exec, s[50:51]
	v_cmp_eq_u32_e32 vcc, s29, v16
	s_or_b64 s[48:49], vcc, s[48:49]
	s_andn2_b64 exec, exec, s[48:49]
	s_cbranch_execz .LBB1_50
.LBB1_22:                               ;   Parent Loop BB1_14 Depth=1
                                        ; =>  This Loop Header: Depth=2
                                        ;       Child Loop BB1_27 Depth 3
                                        ;         Child Loop BB1_37 Depth 4
	v_add_u32_e32 v28, 1, v16
	s_and_saveexec_b64 s[10:11], s[2:3]
	s_xor_b64 s[10:11], exec, s[10:11]
; %bb.23:                               ;   in Loop: Header=BB1_22 Depth=2
	v_add_u32_e32 v16, 1, v16
                                        ; implicit-def: $vgpr28
; %bb.24:                               ;   in Loop: Header=BB1_22 Depth=2
	s_andn2_saveexec_b64 s[50:51], s[10:11]
	s_cbranch_execz .LBB1_21
; %bb.25:                               ;   in Loop: Header=BB1_22 Depth=2
	v_add_u32_e32 v18, v16, v17
	v_mul_lo_u32 v29, v18, s29
	v_add_u32_e32 v20, v29, v16
	v_ashrrev_i32_e32 v21, 31, v20
	v_lshlrev_b64 v[20:21], 2, v[20:21]
	v_mov_b32_e32 v18, s17
	v_add_co_u32_e32 v20, vcc, s16, v20
	v_addc_co_u32_e32 v21, vcc, v18, v21, vcc
	global_load_dword v30, v[20:21], off
	v_add_u32_e32 v18, v16, v11
	v_mul_lo_u32 v31, v18, s29
	v_cmp_gt_i32_e64 s[10:11], s29, v28
	s_mov_b64 s[52:53], 0
	v_mov_b32_e32 v32, v7
	v_mov_b32_e32 v18, v0
	s_branch .LBB1_27
.LBB1_26:                               ;   in Loop: Header=BB1_27 Depth=3
	s_or_b64 exec, exec, s[54:55]
	v_add_u32_e32 v18, 32, v18
	v_cmp_le_i32_e32 vcc, s29, v18
	s_or_b64 s[52:53], vcc, s[52:53]
	v_add_u32_e32 v32, s64, v32
	s_andn2_b64 exec, exec, s[52:53]
	s_cbranch_execz .LBB1_20
.LBB1_27:                               ;   Parent Loop BB1_14 Depth=1
                                        ;     Parent Loop BB1_22 Depth=2
                                        ; =>    This Loop Header: Depth=3
                                        ;         Child Loop BB1_37 Depth 4
	s_and_b64 vcc, exec, s[38:39]
	v_add_u32_e32 v20, v18, v31
	s_cbranch_vccz .LBB1_48
; %bb.28:                               ;   in Loop: Header=BB1_27 Depth=3
	v_add_u32_e32 v22, v18, v31
	v_add_u32_e32 v21, v18, v11
	s_cbranch_execnz .LBB1_30
.LBB1_29:                               ;   in Loop: Header=BB1_27 Depth=3
	v_mad_u64_u32 v[22:23], s[54:55], v21, s29, v[16:17]
.LBB1_30:                               ;   in Loop: Header=BB1_27 Depth=3
	v_ashrrev_i32_e32 v23, 31, v22
	v_lshlrev_b64 v[22:23], 2, v[22:23]
	v_mov_b32_e32 v33, s17
	v_add_co_u32_e32 v22, vcc, s16, v22
	v_addc_co_u32_e32 v23, vcc, v33, v23, vcc
	global_load_dword v22, v[22:23], off
	s_and_b64 vcc, exec, s[38:39]
	s_cbranch_vccz .LBB1_49
; %bb.31:                               ;   in Loop: Header=BB1_27 Depth=3
	s_cbranch_execnz .LBB1_33
.LBB1_32:                               ;   in Loop: Header=BB1_27 Depth=3
	v_mad_u64_u32 v[20:21], s[54:55], v21, s29, v[16:17]
.LBB1_33:                               ;   in Loop: Header=BB1_27 Depth=3
	s_waitcnt vmcnt(0)
	v_div_scale_f32 v21, s[54:55], v30, v30, v22
	v_rcp_f32_e32 v23, v21
	v_div_scale_f32 v33, vcc, v22, v30, v22
	v_fma_f32 v34, -v21, v23, 1.0
	v_fmac_f32_e32 v23, v34, v23
	v_mul_f32_e32 v34, v33, v23
	v_fma_f32 v35, -v21, v34, v33
	v_fmac_f32_e32 v34, v35, v23
	v_fma_f32 v21, -v21, v34, v33
	v_div_fmas_f32 v21, v21, v23, v34
	v_div_fixup_f32 v22, v21, v30, v22
	v_ashrrev_i32_e32 v21, 31, v20
	v_lshlrev_b64 v[20:21], 2, v[20:21]
	v_mov_b32_e32 v23, s17
	v_add_co_u32_e32 v20, vcc, s16, v20
	v_addc_co_u32_e32 v21, vcc, v23, v21, vcc
	global_store_dword v[20:21], v22, off
	s_and_saveexec_b64 s[54:55], s[10:11]
	s_cbranch_execz .LBB1_26
; %bb.34:                               ;   in Loop: Header=BB1_27 Depth=3
	s_mov_b64 s[56:57], 0
	v_mov_b32_e32 v23, v28
	s_branch .LBB1_37
.LBB1_35:                               ;   in Loop: Header=BB1_37 Depth=4
	v_mov_b32_e32 v20, v35
.LBB1_36:                               ;   in Loop: Header=BB1_37 Depth=4
	v_ashrrev_i32_e32 v21, 31, v20
	v_lshlrev_b64 v[20:21], 2, v[20:21]
	v_mov_b32_e32 v34, s17
	v_add_co_u32_e32 v20, vcc, s16, v20
	v_addc_co_u32_e32 v21, vcc, v34, v21, vcc
	v_add_u32_e32 v23, 1, v23
	v_cmp_le_i32_e32 vcc, s29, v23
	s_waitcnt vmcnt(0)
	v_fma_f32 v33, -v22, v33, v36
	s_or_b64 s[56:57], vcc, s[56:57]
	global_store_dword v[20:21], v33, off
	s_andn2_b64 exec, exec, s[56:57]
	s_cbranch_execz .LBB1_26
.LBB1_37:                               ;   Parent Loop BB1_14 Depth=1
                                        ;     Parent Loop BB1_22 Depth=2
                                        ;       Parent Loop BB1_27 Depth=3
                                        ; =>      This Inner Loop Header: Depth=4
	s_and_b64 vcc, exec, s[38:39]
	s_cbranch_vccz .LBB1_45
; %bb.38:                               ;   in Loop: Header=BB1_37 Depth=4
	v_add_u32_e32 v20, v23, v17
	v_mad_u64_u32 v[20:21], s[58:59], v20, s29, v[16:17]
	s_cbranch_execnz .LBB1_40
.LBB1_39:                               ;   in Loop: Header=BB1_37 Depth=4
	v_add_u32_e32 v20, v29, v23
.LBB1_40:                               ;   in Loop: Header=BB1_37 Depth=4
	v_ashrrev_i32_e32 v21, 31, v20
	v_lshlrev_b64 v[20:21], 2, v[20:21]
	v_mov_b32_e32 v33, s17
	v_add_co_u32_e32 v20, vcc, s16, v20
	v_addc_co_u32_e32 v21, vcc, v33, v21, vcc
	global_load_dword v33, v[20:21], off
	s_and_b64 vcc, exec, s[38:39]
	v_add_u32_e32 v34, v23, v11
	s_cbranch_vccz .LBB1_46
; %bb.41:                               ;   in Loop: Header=BB1_37 Depth=4
	v_mad_u64_u32 v[20:21], s[58:59], v34, s29, v[18:19]
	v_add_u32_e32 v35, v32, v23
	s_cbranch_execnz .LBB1_43
.LBB1_42:                               ;   in Loop: Header=BB1_37 Depth=4
	v_add_u32_e32 v20, v32, v23
.LBB1_43:                               ;   in Loop: Header=BB1_37 Depth=4
	v_ashrrev_i32_e32 v21, 31, v20
	v_lshlrev_b64 v[20:21], 2, v[20:21]
	v_mov_b32_e32 v36, s17
	v_add_co_u32_e32 v20, vcc, s16, v20
	v_addc_co_u32_e32 v21, vcc, v36, v21, vcc
	global_load_dword v36, v[20:21], off
	s_and_b64 vcc, exec, s[38:39]
	s_cbranch_vccz .LBB1_47
; %bb.44:                               ;   in Loop: Header=BB1_37 Depth=4
	v_mad_u64_u32 v[20:21], s[58:59], v34, s29, v[18:19]
	s_cbranch_execnz .LBB1_36
	s_branch .LBB1_35
.LBB1_45:                               ;   in Loop: Header=BB1_37 Depth=4
                                        ; implicit-def: $vgpr20
	s_branch .LBB1_39
.LBB1_46:                               ;   in Loop: Header=BB1_37 Depth=4
                                        ; implicit-def: $vgpr20
	v_add_u32_e32 v35, v32, v23
	s_branch .LBB1_42
.LBB1_47:                               ;   in Loop: Header=BB1_37 Depth=4
                                        ; implicit-def: $vgpr20
	s_branch .LBB1_35
.LBB1_48:                               ;   in Loop: Header=BB1_27 Depth=3
                                        ; implicit-def: $vgpr22
	v_add_u32_e32 v21, v18, v11
	s_branch .LBB1_29
.LBB1_49:                               ;   in Loop: Header=BB1_27 Depth=3
                                        ; implicit-def: $vgpr20
	s_branch .LBB1_32
.LBB1_50:                               ;   in Loop: Header=BB1_14 Depth=1
	s_or_b64 exec, exec, s[48:49]
.LBB1_51:                               ;   in Loop: Header=BB1_14 Depth=1
	v_subrev_u32_e32 v22, s28, v27
	v_add_u32_e32 v16, 1, v19
	v_cmp_lt_i32_e32 vcc, v16, v22
	s_and_saveexec_b64 s[10:11], vcc
	s_cbranch_execz .LBB1_12
; %bb.52:                               ;   in Loop: Header=BB1_14 Depth=1
	v_mul_lo_u32 v23, s63, v16
	s_mov_b64 s[48:49], 0
	s_branch .LBB1_55
.LBB1_53:                               ;   in Loop: Header=BB1_55 Depth=2
	s_or_b64 exec, exec, s[50:51]
.LBB1_54:                               ;   in Loop: Header=BB1_55 Depth=2
	v_add_u32_e32 v16, 1, v16
	v_cmp_ge_i32_e32 vcc, v16, v22
	s_or_b64 s[48:49], vcc, s[48:49]
	v_add_u32_e32 v23, s63, v23
	s_andn2_b64 exec, exec, s[48:49]
	s_cbranch_execz .LBB1_12
.LBB1_55:                               ;   Parent Loop BB1_14 Depth=1
                                        ; =>  This Loop Header: Depth=2
                                        ;       Child Loop BB1_60 Depth 3
                                        ;       Child Loop BB1_67 Depth 3
                                        ;         Child Loop BB1_70 Depth 4
                                        ;           Child Loop BB1_72 Depth 5
	v_ashrrev_i32_e32 v17, 31, v16
	s_waitcnt lgkmcnt(0)
	v_lshlrev_b64 v[18:19], 2, v[16:17]
	v_mov_b32_e32 v17, s15
	v_add_co_u32_e32 v18, vcc, s14, v18
	v_addc_co_u32_e32 v19, vcc, v17, v19, vcc
	global_load_dword v17, v[18:19], off
	v_mov_b32_e32 v19, s31
	s_and_saveexec_b64 s[50:51], s[4:5]
	s_cbranch_execz .LBB1_57
; %bb.56:                               ;   in Loop: Header=BB1_55 Depth=2
	global_load_dword v18, v[14:15], off
	s_waitcnt vmcnt(0)
	v_subrev_u32_e32 v19, s28, v18
.LBB1_57:                               ;   in Loop: Header=BB1_55 Depth=2
	s_or_b64 exec, exec, s[50:51]
	s_waitcnt vmcnt(0)
	v_subrev_u32_e32 v17, s28, v17
	v_cmp_lt_i32_e32 vcc, v19, v17
	v_mov_b32_e32 v20, v12
	s_and_saveexec_b64 s[50:51], vcc
	s_cbranch_execz .LBB1_63
; %bb.58:                               ;   in Loop: Header=BB1_55 Depth=2
	s_mov_b64 s[52:53], 0
	v_mov_b32_e32 v18, v12
	s_branch .LBB1_60
.LBB1_59:                               ;   in Loop: Header=BB1_60 Depth=3
	s_or_b64 exec, exec, s[54:55]
	v_cmp_ge_i32_e32 vcc, v19, v17
	s_or_b64 s[52:53], vcc, s[52:53]
	v_mov_b32_e32 v18, v20
	s_andn2_b64 exec, exec, s[52:53]
	s_cbranch_execz .LBB1_62
.LBB1_60:                               ;   Parent Loop BB1_14 Depth=1
                                        ;     Parent Loop BB1_55 Depth=2
                                        ; =>    This Inner Loop Header: Depth=3
	v_add_u32_e32 v20, 32, v18
	v_cmp_lt_i32_e32 vcc, v20, v1
	v_mov_b32_e32 v19, s31
	s_and_saveexec_b64 s[54:55], vcc
	s_cbranch_execz .LBB1_59
; %bb.61:                               ;   in Loop: Header=BB1_60 Depth=3
	v_ashrrev_i32_e32 v19, 31, v18
	v_lshlrev_b64 v[18:19], 2, v[18:19]
	v_mov_b32_e32 v21, s62
	v_add_co_u32_e32 v18, vcc, s61, v18
	v_addc_co_u32_e32 v19, vcc, v21, v19, vcc
	global_load_dword v18, v[18:19], off
	s_waitcnt vmcnt(0)
	v_subrev_u32_e32 v19, s28, v18
	s_branch .LBB1_59
.LBB1_62:                               ;   in Loop: Header=BB1_55 Depth=2
	s_or_b64 exec, exec, s[52:53]
.LBB1_63:                               ;   in Loop: Header=BB1_55 Depth=2
	s_or_b64 exec, exec, s[50:51]
	v_cmp_eq_u32_e32 vcc, v19, v17
	s_cbranch_vccz .LBB1_54
; %bb.64:                               ;   in Loop: Header=BB1_55 Depth=2
	s_ff1_i32_b64 s19, vcc
	v_and_or_b32 v17, v26, 64, s19
	v_lshlrev_b32_e32 v17, 2, v17
	ds_bpermute_b32 v18, v17, v20
	s_and_saveexec_b64 s[50:51], s[0:1]
	s_cbranch_execz .LBB1_53
; %bb.65:                               ;   in Loop: Header=BB1_55 Depth=2
	v_mul_lo_u32 v17, v16, s29
	s_waitcnt lgkmcnt(0)
	v_mul_lo_u32 v19, v18, s29
	s_mov_b64 s[52:53], 0
	v_mov_b32_e32 v27, v7
	v_mov_b32_e32 v18, v0
	s_branch .LBB1_67
.LBB1_66:                               ;   in Loop: Header=BB1_67 Depth=3
	v_add_u32_e32 v18, 32, v18
	v_cmp_le_i32_e32 vcc, s29, v18
	s_or_b64 s[52:53], vcc, s[52:53]
	v_add_u32_e32 v27, s64, v27
	s_andn2_b64 exec, exec, s[52:53]
	s_cbranch_execz .LBB1_53
.LBB1_67:                               ;   Parent Loop BB1_14 Depth=1
                                        ;     Parent Loop BB1_55 Depth=2
                                        ; =>    This Loop Header: Depth=3
                                        ;         Child Loop BB1_70 Depth 4
                                        ;           Child Loop BB1_72 Depth 5
	v_add_u32_e32 v20, v18, v19
	v_mul_lo_u32 v28, v20, s29
	s_mov_b32 s19, 0
	v_mov_b32_e32 v29, v23
	s_branch .LBB1_70
.LBB1_68:                               ;   in Loop: Header=BB1_70 Depth=4
	v_add_u32_e32 v20, s19, v28
.LBB1_69:                               ;   in Loop: Header=BB1_70 Depth=4
	v_ashrrev_i32_e32 v21, 31, v20
	v_lshlrev_b64 v[20:21], 2, v[20:21]
	v_mov_b32_e32 v31, s17
	v_add_co_u32_e32 v20, vcc, s16, v20
	v_addc_co_u32_e32 v21, vcc, v31, v21, vcc
	global_load_dword v31, v[20:21], off
	s_add_i32 s19, s19, 1
	s_cmp_eq_u32 s19, s29
	v_add_u32_e32 v29, 1, v29
	s_waitcnt vmcnt(0)
	v_sub_f32_e32 v30, v31, v30
	global_store_dword v[20:21], v30, off
	s_cbranch_scc1 .LBB1_66
.LBB1_70:                               ;   Parent Loop BB1_14 Depth=1
                                        ;     Parent Loop BB1_55 Depth=2
                                        ;       Parent Loop BB1_67 Depth=3
                                        ; =>      This Loop Header: Depth=4
                                        ;           Child Loop BB1_72 Depth 5
	v_add_u32_e32 v20, s19, v17
	v_mul_lo_u32 v31, v20, s29
	v_mov_b32_e32 v30, 0
	v_mov_b32_e32 v32, v29
	s_mov_b32 s56, 0
	s_branch .LBB1_72
.LBB1_71:                               ;   in Loop: Header=BB1_72 Depth=5
	v_ashrrev_i32_e32 v21, 31, v20
	v_lshlrev_b64 v[20:21], 2, v[20:21]
	v_mov_b32_e32 v34, s17
	v_add_co_u32_e32 v20, vcc, s16, v20
	v_addc_co_u32_e32 v21, vcc, v34, v21, vcc
	global_load_dword v20, v[20:21], off
	s_add_i32 s56, s56, 1
	s_cmp_eq_u32 s29, s56
	v_add_u32_e32 v32, s29, v32
	s_waitcnt vmcnt(0)
	v_fmac_f32_e32 v30, v33, v20
	s_cbranch_scc1 .LBB1_78
.LBB1_72:                               ;   Parent Loop BB1_14 Depth=1
                                        ;     Parent Loop BB1_55 Depth=2
                                        ;       Parent Loop BB1_67 Depth=3
                                        ;         Parent Loop BB1_70 Depth=4
                                        ; =>        This Inner Loop Header: Depth=5
	s_and_b64 vcc, exec, s[38:39]
	s_cbranch_vccz .LBB1_77
; %bb.73:                               ;   in Loop: Header=BB1_72 Depth=5
	v_add_u32_e32 v20, s56, v11
	v_mad_u64_u32 v[20:21], s[54:55], v20, s29, v[18:19]
	s_cbranch_execnz .LBB1_75
.LBB1_74:                               ;   in Loop: Header=BB1_72 Depth=5
	v_add_u32_e32 v20, s56, v27
.LBB1_75:                               ;   in Loop: Header=BB1_72 Depth=5
	v_ashrrev_i32_e32 v21, 31, v20
	v_lshlrev_b64 v[20:21], 2, v[20:21]
	v_mov_b32_e32 v33, s17
	v_add_co_u32_e32 v20, vcc, s16, v20
	v_addc_co_u32_e32 v21, vcc, v33, v21, vcc
	global_load_dword v33, v[20:21], off
	s_andn2_b64 vcc, exec, s[38:39]
	v_mov_b32_e32 v20, v32
	s_cbranch_vccnz .LBB1_71
; %bb.76:                               ;   in Loop: Header=BB1_72 Depth=5
	v_add_u32_e32 v20, s56, v31
	s_branch .LBB1_71
.LBB1_77:                               ;   in Loop: Header=BB1_72 Depth=5
                                        ; implicit-def: $vgpr20
	s_branch .LBB1_74
.LBB1_78:                               ;   in Loop: Header=BB1_70 Depth=4
	s_and_b64 vcc, exec, s[38:39]
	s_cbranch_vccz .LBB1_80
; %bb.79:                               ;   in Loop: Header=BB1_70 Depth=4
	v_add_u32_e32 v20, s19, v19
	v_mad_u64_u32 v[20:21], s[54:55], v20, s29, v[18:19]
	s_cbranch_execnz .LBB1_69
	s_branch .LBB1_68
.LBB1_80:                               ;   in Loop: Header=BB1_70 Depth=4
                                        ; implicit-def: $vgpr20
	s_branch .LBB1_68
.LBB1_81:
	s_or_b64 exec, exec, s[12:13]
	s_and_b64 s[6:7], s[40:41], exec
.LBB1_82:
	s_or_b64 exec, exec, s[36:37]
	v_ashrrev_i32_e32 v7, 31, v6
	v_lshlrev_b64 v[10:11], 2, v[6:7]
	v_mov_b32_e32 v3, s15
	v_add_co_u32_e32 v10, vcc, s14, v10
	v_addc_co_u32_e32 v11, vcc, v3, v11, vcc
	global_load_dword v3, v[10:11], off
	s_waitcnt lgkmcnt(0)
	s_cmp_gt_i32 s29, 0
	s_cselect_b64 s[8:9], -1, 0
	s_waitcnt vmcnt(0)
	v_subrev_u32_e32 v3, s28, v3
	v_cmp_eq_u32_e32 vcc, v3, v2
	s_and_b64 s[0:1], s[8:9], vcc
	s_and_saveexec_b64 s[10:11], s[0:1]
	s_cbranch_execz .LBB1_122
; %bb.83:
	s_cmp_eq_u64 s[20:21], 8
	v_cvt_f64_f32_e32 v[10:11], v25
	s_cselect_b64 vcc, -1, 0
	s_cmp_lg_u32 s30, 0
	v_mul_lo_u32 v3, v6, s29
	v_cndmask_b32_e64 v12, 0, 1, s[34:35]
	v_cndmask_b32_e32 v9, v11, v9, vcc
	v_cndmask_b32_e32 v8, v10, v8, vcc
	s_cselect_b64 s[12:13], -1, 0
	v_cmp_eq_u32_e64 s[0:1], 0, v0
	v_add3_u32 v7, v3, v0, 1
	s_lshl_b32 s31, s29, 5
	s_mov_b64 s[14:15], 0
	v_mov_b32_e32 v10, 0
	v_mov_b32_e32 v11, s17
	v_cmp_ne_u32_e64 s[2:3], 1, v12
	s_mov_b64 s[20:21], s[6:7]
                                        ; implicit-def: $sgpr18_sgpr19
	s_branch .LBB1_85
.LBB1_84:                               ;   in Loop: Header=BB1_85 Depth=1
	s_or_b64 exec, exec, s[4:5]
	v_cmp_eq_u32_e32 vcc, s29, v13
	s_or_b64 s[14:15], vcc, s[14:15]
	s_andn2_b64 s[4:5], s[18:19], exec
	s_and_b64 s[18:19], s[20:21], exec
	s_or_b64 s[18:19], s[4:5], s[18:19]
	v_mov_b32_e32 v10, v13
	s_andn2_b64 exec, exec, s[14:15]
	s_cbranch_execz .LBB1_121
.LBB1_85:                               ; =>This Loop Header: Depth=1
                                        ;     Child Loop BB1_95 Depth 2
                                        ;       Child Loop BB1_105 Depth 3
	v_add_u32_e32 v12, v10, v3
	v_mul_lo_u32 v18, v12, s29
	v_add_u32_e32 v12, v18, v10
	v_ashrrev_i32_e32 v13, 31, v12
	v_lshlrev_b64 v[12:13], 2, v[12:13]
	v_add_co_u32_e32 v12, vcc, s16, v12
	v_addc_co_u32_e32 v13, vcc, v11, v13, vcc
	global_load_dword v19, v[12:13], off
	s_and_b64 vcc, exec, s[2:3]
	s_cbranch_vccnz .LBB1_90
; %bb.86:                               ;   in Loop: Header=BB1_85 Depth=1
	s_waitcnt vmcnt(0)
	v_cmp_gt_f32_e32 vcc, 0, v19
	v_cndmask_b32_e64 v14, v19, -v19, vcc
	v_cvt_f64_f32_e32 v[14:15], v14
	v_cmp_ge_f64_e32 vcc, v[8:9], v[14:15]
	v_cndmask_b32_e32 v14, v19, v24, vcc
	s_and_saveexec_b64 s[4:5], s[0:1]
	s_cbranch_execz .LBB1_88
; %bb.87:                               ;   in Loop: Header=BB1_85 Depth=1
	global_store_dword v[12:13], v14, off
.LBB1_88:                               ;   in Loop: Header=BB1_85 Depth=1
	s_or_b64 exec, exec, s[4:5]
	s_mov_b64 s[4:5], -1
	s_mov_b64 s[34:35], 0
	s_cbranch_execz .LBB1_91
; %bb.89:                               ;   in Loop: Header=BB1_85 Depth=1
	s_waitcnt vmcnt(0)
	v_mov_b32_e32 v19, v14
                                        ; implicit-def: $sgpr38_sgpr39
                                        ; implicit-def: $vgpr13
	s_and_saveexec_b64 s[36:37], s[4:5]
	s_xor_b64 s[36:37], exec, s[36:37]
	s_cbranch_execz .LBB1_119
	s_branch .LBB1_92
.LBB1_90:                               ;   in Loop: Header=BB1_85 Depth=1
	s_mov_b64 s[4:5], 0
                                        ; implicit-def: $vgpr14
	s_mov_b64 s[34:35], 0
.LBB1_91:                               ;   in Loop: Header=BB1_85 Depth=1
	s_waitcnt vmcnt(0)
	v_cmp_neq_f32_e32 vcc, 0, v19
	s_andn2_b64 s[4:5], s[4:5], exec
	s_and_b64 s[36:37], vcc, exec
	s_mov_b64 s[34:35], -1
	s_or_b64 s[4:5], s[4:5], s[36:37]
                                        ; implicit-def: $sgpr38_sgpr39
                                        ; implicit-def: $vgpr13
	s_and_saveexec_b64 s[36:37], s[4:5]
	s_xor_b64 s[36:37], exec, s[36:37]
	s_cbranch_execz .LBB1_119
.LBB1_92:                               ;   in Loop: Header=BB1_85 Depth=1
	v_add_u32_e32 v13, 1, v10
	v_add_u32_e32 v12, v13, v0
	v_cmp_gt_i32_e32 vcc, s29, v12
	s_and_saveexec_b64 s[38:39], vcc
	s_cbranch_execz .LBB1_118
; %bb.93:                               ;   in Loop: Header=BB1_85 Depth=1
	v_add_u32_e32 v14, v7, v10
	v_cmp_gt_i32_e64 s[4:5], s29, v13
	v_mul_lo_u32 v20, s29, v14
	s_mov_b64 s[40:41], 0
	s_branch .LBB1_95
.LBB1_94:                               ;   in Loop: Header=BB1_95 Depth=2
	s_or_b64 exec, exec, s[42:43]
	v_add_u32_e32 v12, 32, v12
	v_cmp_le_i32_e32 vcc, s29, v12
	s_or_b64 s[40:41], vcc, s[40:41]
	v_add_u32_e32 v20, s31, v20
	s_andn2_b64 exec, exec, s[40:41]
	s_cbranch_execz .LBB1_118
.LBB1_95:                               ;   Parent Loop BB1_85 Depth=1
                                        ; =>  This Loop Header: Depth=2
                                        ;       Child Loop BB1_105 Depth 3
	s_and_b64 vcc, exec, s[12:13]
	v_add_u32_e32 v14, v12, v18
	s_cbranch_vccz .LBB1_116
; %bb.96:                               ;   in Loop: Header=BB1_95 Depth=2
	v_add_u32_e32 v16, v12, v18
	s_cbranch_execnz .LBB1_98
.LBB1_97:                               ;   in Loop: Header=BB1_95 Depth=2
	v_add_u32_e32 v15, v12, v3
	v_mad_u64_u32 v[16:17], s[42:43], v15, s29, v[10:11]
.LBB1_98:                               ;   in Loop: Header=BB1_95 Depth=2
	v_ashrrev_i32_e32 v17, 31, v16
	v_lshlrev_b64 v[16:17], 2, v[16:17]
	v_add_co_u32_e32 v16, vcc, s16, v16
	v_addc_co_u32_e32 v17, vcc, v11, v17, vcc
	global_load_dword v16, v[16:17], off
	s_and_b64 vcc, exec, s[12:13]
	s_cbranch_vccz .LBB1_117
; %bb.99:                               ;   in Loop: Header=BB1_95 Depth=2
	s_cbranch_execnz .LBB1_101
.LBB1_100:                              ;   in Loop: Header=BB1_95 Depth=2
	v_add_u32_e32 v14, v12, v3
	v_mad_u64_u32 v[14:15], s[42:43], v14, s29, v[10:11]
.LBB1_101:                              ;   in Loop: Header=BB1_95 Depth=2
	s_waitcnt vmcnt(0)
	v_div_scale_f32 v15, s[42:43], v19, v19, v16
	v_rcp_f32_e32 v17, v15
	v_div_scale_f32 v21, vcc, v16, v19, v16
	v_fma_f32 v22, -v15, v17, 1.0
	v_fmac_f32_e32 v17, v22, v17
	v_mul_f32_e32 v22, v21, v17
	v_fma_f32 v23, -v15, v22, v21
	v_fmac_f32_e32 v22, v23, v17
	v_fma_f32 v15, -v15, v22, v21
	v_div_fmas_f32 v15, v15, v17, v22
	v_div_fixup_f32 v16, v15, v19, v16
	v_ashrrev_i32_e32 v15, 31, v14
	v_lshlrev_b64 v[14:15], 2, v[14:15]
	v_add_co_u32_e32 v14, vcc, s16, v14
	v_addc_co_u32_e32 v15, vcc, v11, v15, vcc
	global_store_dword v[14:15], v16, off
	s_and_saveexec_b64 s[42:43], s[4:5]
	s_cbranch_execz .LBB1_94
; %bb.102:                              ;   in Loop: Header=BB1_95 Depth=2
	s_mov_b64 s[44:45], 0
	v_mov_b32_e32 v17, v13
	s_branch .LBB1_105
.LBB1_103:                              ;   in Loop: Header=BB1_105 Depth=3
	v_add_u32_e32 v14, v20, v17
.LBB1_104:                              ;   in Loop: Header=BB1_105 Depth=3
	v_ashrrev_i32_e32 v15, 31, v14
	v_lshlrev_b64 v[14:15], 2, v[14:15]
	s_waitcnt vmcnt(0)
	v_fma_f32 v21, -v16, v22, v23
	v_mov_b32_e32 v22, s17
	v_add_co_u32_e32 v14, vcc, s16, v14
	v_addc_co_u32_e32 v15, vcc, v22, v15, vcc
	v_add_u32_e32 v17, 1, v17
	v_cmp_le_i32_e32 vcc, s29, v17
	s_or_b64 s[44:45], vcc, s[44:45]
	global_store_dword v[14:15], v21, off
	s_andn2_b64 exec, exec, s[44:45]
	s_cbranch_execz .LBB1_94
.LBB1_105:                              ;   Parent Loop BB1_85 Depth=1
                                        ;     Parent Loop BB1_95 Depth=2
                                        ; =>    This Inner Loop Header: Depth=3
	s_and_b64 vcc, exec, s[12:13]
	v_add_u32_e32 v21, v17, v3
	s_cbranch_vccz .LBB1_113
; %bb.106:                              ;   in Loop: Header=BB1_105 Depth=3
	v_mad_u64_u32 v[14:15], s[46:47], v21, s29, v[10:11]
	s_cbranch_execnz .LBB1_108
.LBB1_107:                              ;   in Loop: Header=BB1_105 Depth=3
	v_add_u32_e32 v14, v18, v17
.LBB1_108:                              ;   in Loop: Header=BB1_105 Depth=3
	v_ashrrev_i32_e32 v15, 31, v14
	v_lshlrev_b64 v[14:15], 2, v[14:15]
	v_mov_b32_e32 v22, s17
	v_add_co_u32_e32 v14, vcc, s16, v14
	v_addc_co_u32_e32 v15, vcc, v22, v15, vcc
	global_load_dword v22, v[14:15], off
	s_and_b64 vcc, exec, s[12:13]
	s_cbranch_vccz .LBB1_114
; %bb.109:                              ;   in Loop: Header=BB1_105 Depth=3
	v_mad_u64_u32 v[14:15], s[46:47], v21, s29, v[12:13]
	s_cbranch_execnz .LBB1_111
.LBB1_110:                              ;   in Loop: Header=BB1_105 Depth=3
	v_add_u32_e32 v14, v20, v17
.LBB1_111:                              ;   in Loop: Header=BB1_105 Depth=3
	v_ashrrev_i32_e32 v15, 31, v14
	v_lshlrev_b64 v[14:15], 2, v[14:15]
	v_mov_b32_e32 v23, s17
	v_add_co_u32_e32 v14, vcc, s16, v14
	v_addc_co_u32_e32 v15, vcc, v23, v15, vcc
	global_load_dword v23, v[14:15], off
	s_and_b64 vcc, exec, s[12:13]
	s_cbranch_vccz .LBB1_115
; %bb.112:                              ;   in Loop: Header=BB1_105 Depth=3
	v_mad_u64_u32 v[14:15], s[46:47], v21, s29, v[12:13]
	s_cbranch_execnz .LBB1_104
	s_branch .LBB1_103
.LBB1_113:                              ;   in Loop: Header=BB1_105 Depth=3
                                        ; implicit-def: $vgpr14
	s_branch .LBB1_107
.LBB1_114:                              ;   in Loop: Header=BB1_105 Depth=3
                                        ; implicit-def: $vgpr14
	s_branch .LBB1_110
.LBB1_115:                              ;   in Loop: Header=BB1_105 Depth=3
                                        ; implicit-def: $vgpr14
	s_branch .LBB1_103
.LBB1_116:                              ;   in Loop: Header=BB1_95 Depth=2
                                        ; implicit-def: $vgpr16
	s_branch .LBB1_97
.LBB1_117:                              ;   in Loop: Header=BB1_95 Depth=2
                                        ; implicit-def: $vgpr14
	s_branch .LBB1_100
.LBB1_118:                              ;   in Loop: Header=BB1_85 Depth=1
	s_or_b64 exec, exec, s[38:39]
	s_and_b64 s[38:39], s[20:21], exec
	s_andn2_b64 s[34:35], s[34:35], exec
.LBB1_119:                              ;   in Loop: Header=BB1_85 Depth=1
	s_or_b64 exec, exec, s[36:37]
	s_andn2_b64 s[4:5], s[20:21], exec
	s_and_b64 s[20:21], s[38:39], exec
	s_or_b64 s[20:21], s[4:5], s[20:21]
	s_and_saveexec_b64 s[4:5], s[34:35]
	s_cbranch_execz .LBB1_84
; %bb.120:                              ;   in Loop: Header=BB1_85 Depth=1
	v_add_u32_e32 v13, 1, v10
	s_or_b64 s[20:21], s[20:21], exec
	s_branch .LBB1_84
.LBB1_121:
	s_or_b64 exec, exec, s[14:15]
	s_andn2_b64 s[0:1], s[6:7], exec
	s_and_b64 s[2:3], s[18:19], exec
	s_or_b64 s[6:7], s[0:1], s[2:3]
.LBB1_122:
	s_or_b64 exec, exec, s[10:11]
	v_add_u32_e32 v3, 1, v6
	v_cmp_lt_i32_e32 vcc, v3, v1
	s_and_saveexec_b64 s[10:11], vcc
	s_cbranch_execz .LBB1_146
; %bb.123:
	v_mul_lo_u32 v10, v6, s29
	v_mul_lo_u32 v6, s29, v10
	s_mul_i32 s31, s29, s29
	v_add_u32_e32 v11, s29, v6
	v_mul_lo_u32 v6, s31, v3
	s_cmp_lg_u32 s30, 0
	v_add3_u32 v12, v6, s29, v0
	v_cndmask_b32_e64 v6, 0, 1, s[8:9]
	v_cmp_gt_i32_e64 s[0:1], s29, v0
	s_cselect_b64 s[12:13], -1, 0
	s_add_i32 s30, s29, 1
	s_mov_b64 s[14:15], 0
	v_cmp_ne_u32_e64 s[2:3], 1, v6
	s_branch .LBB1_125
.LBB1_124:                              ;   in Loop: Header=BB1_125 Depth=1
	v_add_u32_e32 v3, 1, v3
	v_cmp_ge_i32_e32 vcc, v3, v1
	s_or_b64 s[14:15], vcc, s[14:15]
	v_add_u32_e32 v12, s31, v12
	s_andn2_b64 exec, exec, s[14:15]
	s_cbranch_execz .LBB1_146
.LBB1_125:                              ; =>This Loop Header: Depth=1
                                        ;     Child Loop BB1_128 Depth 2
                                        ;       Child Loop BB1_131 Depth 3
                                        ;         Child Loop BB1_135 Depth 4
	s_and_b64 vcc, exec, s[2:3]
	s_cbranch_vccnz .LBB1_124
; %bb.126:                              ;   in Loop: Header=BB1_125 Depth=1
	v_mul_lo_u32 v13, v3, s29
	s_mov_b32 s33, 0
	v_mov_b32_e32 v14, v12
	v_mov_b32_e32 v15, v11
	s_branch .LBB1_128
.LBB1_127:                              ;   in Loop: Header=BB1_128 Depth=2
	s_or_b64 exec, exec, s[8:9]
	v_add_u32_e32 v15, s30, v15
	v_add_u32_e32 v14, s29, v14
	s_cmp_eq_u32 s34, s29
	s_mov_b32 s33, s34
	s_cbranch_scc1 .LBB1_124
.LBB1_128:                              ;   Parent Loop BB1_125 Depth=1
                                        ; =>  This Loop Header: Depth=2
                                        ;       Child Loop BB1_131 Depth 3
                                        ;         Child Loop BB1_135 Depth 4
	s_add_i32 s34, s33, 1
	s_and_saveexec_b64 s[8:9], s[0:1]
	s_cbranch_execz .LBB1_127
; %bb.129:                              ;   in Loop: Header=BB1_128 Depth=2
	s_cmp_lt_i32 s34, s29
	v_add_u32_e32 v6, s33, v10
	v_mul_lo_u32 v16, v6, s29
	v_add_u32_e32 v6, s33, v13
	s_cselect_b64 s[4:5], -1, 0
	v_mul_lo_u32 v17, v6, s29
	v_cndmask_b32_e64 v6, 0, 1, s[4:5]
	s_mov_b64 s[18:19], 0
	v_cmp_ne_u32_e64 s[4:5], 1, v6
	v_mov_b32_e32 v18, v14
	v_mov_b32_e32 v19, v0
	s_branch .LBB1_131
.LBB1_130:                              ;   in Loop: Header=BB1_131 Depth=3
	v_add_u32_e32 v19, 32, v19
	v_cmp_le_i32_e32 vcc, s29, v19
	s_or_b64 s[18:19], vcc, s[18:19]
	v_add_u32_e32 v18, 32, v18
	s_andn2_b64 exec, exec, s[18:19]
	s_cbranch_execz .LBB1_127
.LBB1_131:                              ;   Parent Loop BB1_125 Depth=1
                                        ;     Parent Loop BB1_128 Depth=2
                                        ; =>    This Loop Header: Depth=3
                                        ;         Child Loop BB1_135 Depth 4
	s_and_b64 vcc, exec, s[4:5]
	s_cbranch_vccnz .LBB1_130
; %bb.132:                              ;   in Loop: Header=BB1_131 Depth=3
	v_add_u32_e32 v6, v19, v13
	v_mul_lo_u32 v20, v6, s29
	v_add_u32_e32 v21, s33, v20
	v_add_u32_e32 v22, v19, v17
	s_mov_b32 s35, 0
	s_mov_b32 s36, s34
	s_branch .LBB1_135
.LBB1_133:                              ;   in Loop: Header=BB1_135 Depth=4
	v_mov_b32_e32 v6, v24
.LBB1_134:                              ;   in Loop: Header=BB1_135 Depth=4
	s_waitcnt vmcnt(0)
	v_fma_f32 v8, -v7, v23, v8
	v_ashrrev_i32_e32 v7, 31, v6
	v_lshlrev_b64 v[6:7], 2, v[6:7]
	v_mov_b32_e32 v9, s17
	v_add_co_u32_e32 v6, vcc, s16, v6
	s_add_i32 s36, s36, 1
	s_add_i32 s35, s35, s29
	v_addc_co_u32_e32 v7, vcc, v9, v7, vcc
	s_cmp_ge_i32 s36, s29
	global_store_dword v[6:7], v8, off
	s_cbranch_scc1 .LBB1_130
.LBB1_135:                              ;   Parent Loop BB1_125 Depth=1
                                        ;     Parent Loop BB1_128 Depth=2
                                        ;       Parent Loop BB1_131 Depth=3
                                        ; =>      This Inner Loop Header: Depth=4
	s_and_b64 vcc, exec, s[12:13]
	s_cbranch_vccz .LBB1_143
; %bb.136:                              ;   in Loop: Header=BB1_135 Depth=4
	v_add_u32_e32 v6, s36, v16
	v_mov_b32_e32 v8, v21
	s_cbranch_execnz .LBB1_138
.LBB1_137:                              ;   in Loop: Header=BB1_135 Depth=4
	v_add_u32_e32 v6, s35, v15
	v_mov_b32_e32 v8, v22
.LBB1_138:                              ;   in Loop: Header=BB1_135 Depth=4
	v_ashrrev_i32_e32 v7, 31, v6
	v_lshlrev_b64 v[6:7], 2, v[6:7]
	v_mov_b32_e32 v9, s17
	v_add_co_u32_e32 v24, vcc, s16, v6
	v_addc_co_u32_e32 v25, vcc, v9, v7, vcc
	v_ashrrev_i32_e32 v9, 31, v8
	v_lshlrev_b64 v[6:7], 2, v[8:9]
	v_mov_b32_e32 v9, s17
	v_add_co_u32_e32 v8, vcc, s16, v6
	v_addc_co_u32_e32 v9, vcc, v9, v7, vcc
	global_load_dword v7, v[24:25], off
	global_load_dword v23, v[8:9], off
	s_and_b64 vcc, exec, s[12:13]
	v_add_u32_e32 v6, s36, v20
	s_cbranch_vccz .LBB1_144
; %bb.139:                              ;   in Loop: Header=BB1_135 Depth=4
	v_add_u32_e32 v8, s36, v20
	v_add_u32_e32 v24, s35, v18
	s_cbranch_execnz .LBB1_141
.LBB1_140:                              ;   in Loop: Header=BB1_135 Depth=4
	v_add_u32_e32 v8, s35, v18
.LBB1_141:                              ;   in Loop: Header=BB1_135 Depth=4
	v_ashrrev_i32_e32 v9, 31, v8
	v_lshlrev_b64 v[8:9], 2, v[8:9]
	v_mov_b32_e32 v25, s17
	v_add_co_u32_e32 v8, vcc, s16, v8
	v_addc_co_u32_e32 v9, vcc, v25, v9, vcc
	global_load_dword v8, v[8:9], off
	s_and_b64 vcc, exec, s[12:13]
	s_cbranch_vccz .LBB1_145
; %bb.142:                              ;   in Loop: Header=BB1_135 Depth=4
	s_cbranch_execnz .LBB1_134
	s_branch .LBB1_133
.LBB1_143:                              ;   in Loop: Header=BB1_135 Depth=4
                                        ; implicit-def: $vgpr6
	v_mov_b32_e32 v8, v21
	s_branch .LBB1_137
.LBB1_144:                              ;   in Loop: Header=BB1_135 Depth=4
                                        ; implicit-def: $vgpr8
	v_add_u32_e32 v24, s35, v18
	s_branch .LBB1_140
.LBB1_145:                              ;   in Loop: Header=BB1_135 Depth=4
                                        ; implicit-def: $vgpr6
	s_branch .LBB1_133
.LBB1_146:
	s_or_b64 exec, exec, s[10:11]
	s_orn2_b64 s[0:1], s[6:7], exec
.LBB1_147:
	s_or_b64 exec, exec, s[26:27]
	v_cmp_eq_u32_e32 vcc, 0, v0
	s_and_b64 exec, exec, vcc
	s_cbranch_execz .LBB1_153
; %bb.148:
	v_mov_b32_e32 v1, s25
	v_add_co_u32_e32 v0, vcc, s24, v4
	v_addc_co_u32_e32 v1, vcc, v1, v5, vcc
	v_mov_b32_e32 v3, 1
	s_waitcnt vmcnt(0)
	global_store_dword v[0:1], v3, off
	s_and_b64 exec, exec, s[0:1]
	s_cbranch_execz .LBB1_153
; %bb.149:
	s_mov_b64 s[0:1], exec
	v_add_u32_e32 v0, s28, v2
	s_brev_b32 s2, -2
.LBB1_150:                              ; =>This Inner Loop Header: Depth=1
	s_ff1_i32_b64 s3, s[0:1]
	v_readlane_b32 s6, v0, s3
	s_lshl_b64 s[4:5], 1, s3
	s_min_i32 s2, s2, s6
	s_andn2_b64 s[0:1], s[0:1], s[4:5]
	s_cmp_lg_u64 s[0:1], 0
	s_cbranch_scc1 .LBB1_150
; %bb.151:
	v_mbcnt_lo_u32_b32 v0, exec_lo, 0
	v_mbcnt_hi_u32_b32 v0, exec_hi, v0
	v_cmp_eq_u32_e32 vcc, 0, v0
	s_and_saveexec_b64 s[0:1], vcc
	s_xor_b64 s[0:1], exec, s[0:1]
	s_cbranch_execz .LBB1_153
; %bb.152:
	v_mov_b32_e32 v0, 0
	v_mov_b32_e32 v1, s2
	global_atomic_smin v0, v1, s[22:23]
.LBB1_153:
	s_endpgm
	.section	.rodata,"a",@progbits
	.p2align	6, 0x0
	.amdhsa_kernel _ZN9rocsparseL15bsrilu0_generalILj128ELj32ELb0EfEEv20rocsparse_direction_iPKiS3_PT2_S3_iPiS3_S6_21rocsparse_index_base_imNS_24const_host_device_scalarIfEENS8_IdEENS8_IS4_EEb
		.amdhsa_group_segment_fixed_size 0
		.amdhsa_private_segment_fixed_size 0
		.amdhsa_kernarg_size 116
		.amdhsa_user_sgpr_count 6
		.amdhsa_user_sgpr_private_segment_buffer 1
		.amdhsa_user_sgpr_dispatch_ptr 0
		.amdhsa_user_sgpr_queue_ptr 0
		.amdhsa_user_sgpr_kernarg_segment_ptr 1
		.amdhsa_user_sgpr_dispatch_id 0
		.amdhsa_user_sgpr_flat_scratch_init 0
		.amdhsa_user_sgpr_kernarg_preload_length 0
		.amdhsa_user_sgpr_kernarg_preload_offset 0
		.amdhsa_user_sgpr_private_segment_size 0
		.amdhsa_uses_dynamic_stack 0
		.amdhsa_system_sgpr_private_segment_wavefront_offset 0
		.amdhsa_system_sgpr_workgroup_id_x 1
		.amdhsa_system_sgpr_workgroup_id_y 0
		.amdhsa_system_sgpr_workgroup_id_z 0
		.amdhsa_system_sgpr_workgroup_info 0
		.amdhsa_system_vgpr_workitem_id 0
		.amdhsa_next_free_vgpr 37
		.amdhsa_next_free_sgpr 65
		.amdhsa_accum_offset 40
		.amdhsa_reserve_vcc 1
		.amdhsa_reserve_flat_scratch 0
		.amdhsa_float_round_mode_32 0
		.amdhsa_float_round_mode_16_64 0
		.amdhsa_float_denorm_mode_32 3
		.amdhsa_float_denorm_mode_16_64 3
		.amdhsa_dx10_clamp 1
		.amdhsa_ieee_mode 1
		.amdhsa_fp16_overflow 0
		.amdhsa_tg_split 0
		.amdhsa_exception_fp_ieee_invalid_op 0
		.amdhsa_exception_fp_denorm_src 0
		.amdhsa_exception_fp_ieee_div_zero 0
		.amdhsa_exception_fp_ieee_overflow 0
		.amdhsa_exception_fp_ieee_underflow 0
		.amdhsa_exception_fp_ieee_inexact 0
		.amdhsa_exception_int_div_zero 0
	.end_amdhsa_kernel
	.section	.text._ZN9rocsparseL15bsrilu0_generalILj128ELj32ELb0EfEEv20rocsparse_direction_iPKiS3_PT2_S3_iPiS3_S6_21rocsparse_index_base_imNS_24const_host_device_scalarIfEENS8_IdEENS8_IS4_EEb,"axG",@progbits,_ZN9rocsparseL15bsrilu0_generalILj128ELj32ELb0EfEEv20rocsparse_direction_iPKiS3_PT2_S3_iPiS3_S6_21rocsparse_index_base_imNS_24const_host_device_scalarIfEENS8_IdEENS8_IS4_EEb,comdat
.Lfunc_end1:
	.size	_ZN9rocsparseL15bsrilu0_generalILj128ELj32ELb0EfEEv20rocsparse_direction_iPKiS3_PT2_S3_iPiS3_S6_21rocsparse_index_base_imNS_24const_host_device_scalarIfEENS8_IdEENS8_IS4_EEb, .Lfunc_end1-_ZN9rocsparseL15bsrilu0_generalILj128ELj32ELb0EfEEv20rocsparse_direction_iPKiS3_PT2_S3_iPiS3_S6_21rocsparse_index_base_imNS_24const_host_device_scalarIfEENS8_IdEENS8_IS4_EEb
                                        ; -- End function
	.section	.AMDGPU.csdata,"",@progbits
; Kernel info:
; codeLenInByte = 3848
; NumSgprs: 69
; NumVgprs: 37
; NumAgprs: 0
; TotalNumVgprs: 37
; ScratchSize: 0
; MemoryBound: 0
; FloatMode: 240
; IeeeMode: 1
; LDSByteSize: 0 bytes/workgroup (compile time only)
; SGPRBlocks: 8
; VGPRBlocks: 4
; NumSGPRsForWavesPerEU: 69
; NumVGPRsForWavesPerEU: 37
; AccumOffset: 40
; Occupancy: 8
; WaveLimiterHint : 1
; COMPUTE_PGM_RSRC2:SCRATCH_EN: 0
; COMPUTE_PGM_RSRC2:USER_SGPR: 6
; COMPUTE_PGM_RSRC2:TRAP_HANDLER: 0
; COMPUTE_PGM_RSRC2:TGID_X_EN: 1
; COMPUTE_PGM_RSRC2:TGID_Y_EN: 0
; COMPUTE_PGM_RSRC2:TGID_Z_EN: 0
; COMPUTE_PGM_RSRC2:TIDIG_COMP_CNT: 0
; COMPUTE_PGM_RSRC3_GFX90A:ACCUM_OFFSET: 9
; COMPUTE_PGM_RSRC3_GFX90A:TG_SPLIT: 0
	.section	.text._ZN9rocsparseL11bsrilu0_2_8ILj64ELj64ELj8EfEEv20rocsparse_direction_iPKiS3_PT2_S3_iPiS3_S6_21rocsparse_index_base_imNS_24const_host_device_scalarIfEENS8_IdEENS8_IS4_EEb,"axG",@progbits,_ZN9rocsparseL11bsrilu0_2_8ILj64ELj64ELj8EfEEv20rocsparse_direction_iPKiS3_PT2_S3_iPiS3_S6_21rocsparse_index_base_imNS_24const_host_device_scalarIfEENS8_IdEENS8_IS4_EEb,comdat
	.globl	_ZN9rocsparseL11bsrilu0_2_8ILj64ELj64ELj8EfEEv20rocsparse_direction_iPKiS3_PT2_S3_iPiS3_S6_21rocsparse_index_base_imNS_24const_host_device_scalarIfEENS8_IdEENS8_IS4_EEb ; -- Begin function _ZN9rocsparseL11bsrilu0_2_8ILj64ELj64ELj8EfEEv20rocsparse_direction_iPKiS3_PT2_S3_iPiS3_S6_21rocsparse_index_base_imNS_24const_host_device_scalarIfEENS8_IdEENS8_IS4_EEb
	.p2align	8
	.type	_ZN9rocsparseL11bsrilu0_2_8ILj64ELj64ELj8EfEEv20rocsparse_direction_iPKiS3_PT2_S3_iPiS3_S6_21rocsparse_index_base_imNS_24const_host_device_scalarIfEENS8_IdEENS8_IS4_EEb,@function
_ZN9rocsparseL11bsrilu0_2_8ILj64ELj64ELj8EfEEv20rocsparse_direction_iPKiS3_PT2_S3_iPiS3_S6_21rocsparse_index_base_imNS_24const_host_device_scalarIfEENS8_IdEENS8_IS4_EEb: ; @_ZN9rocsparseL11bsrilu0_2_8ILj64ELj64ELj8EfEEv20rocsparse_direction_iPKiS3_PT2_S3_iPiS3_S6_21rocsparse_index_base_imNS_24const_host_device_scalarIfEENS8_IdEENS8_IS4_EEb
; %bb.0:
	s_load_dword s0, s[4:5], 0x70
	s_load_dwordx2 s[24:25], s[4:5], 0x48
	s_load_dwordx8 s[16:23], s[4:5], 0x50
	s_waitcnt lgkmcnt(0)
	s_bitcmp1_b32 s0, 0
	s_cselect_b64 s[0:1], -1, 0
	s_cmp_lg_u32 s25, 0
	s_cselect_b64 s[36:37], -1, 0
	s_cmp_eq_u32 s25, 0
	s_cselect_b64 s[2:3], -1, 0
	s_and_b64 s[8:9], s[2:3], exec
	s_cselect_b32 s10, 0, s20
	s_cselect_b32 s11, 0, s21
	s_or_b64 s[0:1], s[2:3], s[0:1]
	s_xor_b64 s[8:9], s[0:1], -1
	s_and_b64 vcc, exec, s[0:1]
	s_cbranch_vccnz .LBB2_2
; %bb.1:
	s_load_dword s0, s[18:19], 0x0
	s_mov_b64 s[10:11], s[20:21]
	s_waitcnt lgkmcnt(0)
	v_mov_b32_e32 v5, s0
	s_branch .LBB2_3
.LBB2_2:
	v_mov_b32_e32 v1, s18
	v_cndmask_b32_e64 v5, v1, 0, s[2:3]
.LBB2_3:
	v_cndmask_b32_e64 v1, 0, 1, s[8:9]
	v_cmp_ne_u32_e64 s[0:1], 1, v1
	s_andn2_b64 vcc, exec, s[8:9]
	v_pk_mov_b32 v[2:3], s[10:11], s[10:11] op_sel:[0,1]
	s_cbranch_vccnz .LBB2_5
; %bb.4:
	v_pk_mov_b32 v[2:3], s[20:21], s[20:21] op_sel:[0,1]
	flat_load_dwordx2 v[2:3], v[2:3]
.LBB2_5:
	s_and_b64 vcc, exec, s[0:1]
	s_mov_b32 s7, 0
	s_cbranch_vccnz .LBB2_7
; %bb.6:
	s_load_dword s0, s[22:23], 0x0
	s_waitcnt lgkmcnt(0)
	v_mov_b32_e32 v1, s0
	s_branch .LBB2_8
.LBB2_7:
	v_mov_b32_e32 v1, s22
	v_cndmask_b32_e64 v1, v1, 0, s[2:3]
.LBB2_8:
	s_load_dwordx4 s[20:23], s[4:5], 0x30
	s_load_dwordx2 s[18:19], s[4:5], 0x40
	s_lshl_b64 s[0:1], s[6:7], 2
	s_waitcnt lgkmcnt(0)
	s_add_u32 s0, s22, s0
	s_addc_u32 s1, s23, s1
	s_load_dword s22, s[0:1], 0x0
	s_load_dwordx8 s[8:15], s[4:5], 0x8
	s_waitcnt lgkmcnt(0)
	s_ashr_i32 s23, s22, 31
	s_lshl_b64 s[26:27], s[22:23], 2
	s_add_u32 s0, s14, s26
	s_addc_u32 s1, s15, s27
	s_load_dword s30, s[0:1], 0x0
	s_waitcnt lgkmcnt(0)
	s_cmp_eq_u32 s30, -1
	s_cbranch_scc1 .LBB2_82
; %bb.9:
	s_add_u32 s0, s8, s26
	s_addc_u32 s1, s9, s27
	s_load_dwordx2 s[2:3], s[0:1], 0x0
	s_load_dwordx2 s[34:35], s[4:5], 0x0
	s_load_dword s23, s[4:5], 0x28
	s_mov_b64 s[28:29], 0
	s_waitcnt lgkmcnt(0)
	s_sub_i32 s38, s2, s24
	s_sub_i32 s25, s3, s24
	s_cmp_ge_i32 s38, s30
	s_cbranch_scc1 .LBB2_60
; %bb.10:
	s_cmp_eq_u32 s34, 0
	s_cselect_b64 vcc, -1, 0
	s_cmp_gt_i32 s23, 0
	s_cselect_b64 s[6:7], -1, 0
	s_add_u32 s40, s4, 0x78
	s_addc_u32 s41, s5, 0
	s_add_i32 s31, s35, 1
	s_cmp_lg_u32 s23, 1
	v_bfe_u32 v14, v0, 10, 10
	s_cselect_b64 s[42:43], -1, 0
	s_and_b32 s33, s23, 0x7ffffffe
	v_and_b32_e32 v7, 0x3ff, v0
	s_bitcmp1_b32 s23, 0
	v_mul_u32_u24_e32 v9, 9, v14
	v_lshlrev_b32_e32 v8, 2, v7
	s_cselect_b64 s[44:45], -1, 0
	s_add_u32 s35, s8, 4
	v_lshlrev_b32_e32 v19, 2, v9
	v_mad_u32_u24 v15, v14, 36, v8
	s_addc_u32 s54, s9, 0
	v_add_u32_e32 v9, v19, v8
	v_add_u32_e32 v22, 0x120, v8
	v_cndmask_b32_e64 v8, 0, 1, s[6:7]
	v_max_u32_e32 v4, v7, v14
	s_add_u32 s55, s10, 0x100
	v_cmp_ne_u32_e64 s[4:5], 1, v8
	v_mbcnt_lo_u32_b32 v8, -1, 0
	v_add_u32_e32 v16, 0x120, v15
	v_mul_u32_u24_e32 v17, 36, v14
	v_cmp_gt_u32_e64 s[0:1], s23, v4
	v_cmp_eq_u32_e64 s[2:3], 0, v14
	v_add_u32_e32 v18, s38, v7
	v_cndmask_b32_e32 v4, v14, v7, vcc
	v_cndmask_b32_e32 v6, v7, v14, vcc
	s_addc_u32 s56, s11, 0
	v_add_u32_e32 v20, 0x168, v9
	v_add_u32_e32 v21, 0x144, v9
	;; [unrolled: 1-line block ×4, first 2 shown]
	v_mov_b32_e32 v25, 0
	v_mbcnt_hi_u32_b32 v26, -1, v8
	s_branch .LBB2_13
.LBB2_11:                               ;   in Loop: Header=BB2_13 Depth=1
	s_mov_b64 s[28:29], -1
.LBB2_12:                               ;   in Loop: Header=BB2_13 Depth=1
	s_add_i32 s38, s38, 1
	s_cmp_lt_i32 s38, s30
	s_cselect_b64 s[6:7], -1, 0
	s_and_b64 s[6:7], s[8:9], s[6:7]
	s_and_b64 vcc, exec, s[6:7]
	s_cbranch_vccz .LBB2_60
.LBB2_13:                               ; =>This Loop Header: Depth=1
                                        ;     Child Loop BB2_17 Depth 2
                                        ;     Child Loop BB2_24 Depth 2
                                        ;     Child Loop BB2_44 Depth 2
                                        ;       Child Loop BB2_49 Depth 3
                                        ;       Child Loop BB2_57 Depth 3
	s_ashr_i32 s39, s38, 31
	s_lshl_b64 s[6:7], s[38:39], 2
	s_add_u32 s6, s10, s6
	s_addc_u32 s7, s11, s7
	global_load_dword v8, v25, s[6:7]
	s_waitcnt vmcnt(0)
	v_readfirstlane_b32 s8, v8
	v_mov_b32_e32 v8, 0
	s_and_saveexec_b64 s[6:7], s[0:1]
	s_cbranch_execz .LBB2_15
; %bb.14:                               ;   in Loop: Header=BB2_13 Depth=1
	s_mul_i32 s9, s38, s23
	v_add_u32_e32 v8, s9, v4
	v_mad_u64_u32 v[8:9], s[46:47], v8, s23, v[6:7]
	v_mov_b32_e32 v9, v25
	v_lshlrev_b64 v[8:9], 2, v[8:9]
	v_mov_b32_e32 v10, s13
	v_add_co_u32_e32 v8, vcc, s12, v8
	v_addc_co_u32_e32 v9, vcc, v10, v9, vcc
	global_load_dword v8, v[8:9], off
.LBB2_15:                               ;   in Loop: Header=BB2_13 Depth=1
	s_or_b64 exec, exec, s[6:7]
	s_sub_i32 s6, s8, s24
	s_ashr_i32 s7, s6, 31
	s_lshl_b64 s[6:7], s[6:7], 2
	s_add_u32 s8, s14, s6
	s_addc_u32 s9, s15, s7
	global_load_dword v9, v25, s[8:9]
	s_waitcnt vmcnt(1)
	ds_write_b32 v16, v8
	s_waitcnt vmcnt(0)
	v_readfirstlane_b32 s39, v9
	v_cmp_eq_u32_e32 vcc, -1, v9
	s_cmp_lg_u32 s39, -1
	s_cselect_b64 s[8:9], -1, 0
	s_cbranch_vccnz .LBB2_11
; %bb.16:                               ;   in Loop: Header=BB2_13 Depth=1
	s_add_u32 s46, s35, s6
	s_addc_u32 s47, s54, s7
	global_load_dword v8, v25, s[46:47]
	s_add_u32 s6, s20, s6
	s_addc_u32 s7, s21, s7
	s_waitcnt vmcnt(0)
	v_readfirstlane_b32 s46, v8
.LBB2_17:                               ;   Parent Loop BB2_13 Depth=1
                                        ; =>  This Inner Loop Header: Depth=2
	global_load_dword v8, v25, s[6:7] glc
	s_waitcnt vmcnt(0)
	v_cmp_eq_u32_e32 vcc, 0, v8
	s_cbranch_vccnz .LBB2_17
; %bb.18:                               ;   in Loop: Header=BB2_13 Depth=1
	v_mov_b32_e32 v8, 0
	s_waitcnt lgkmcnt(0)
	buffer_wbinvl1_vol
	s_and_saveexec_b64 s[6:7], s[0:1]
	s_cbranch_execz .LBB2_20
; %bb.19:                               ;   in Loop: Header=BB2_13 Depth=1
	s_mul_i32 s47, s39, s23
	v_add_u32_e32 v8, s47, v4
	v_mad_u64_u32 v[8:9], s[48:49], v8, s23, v[6:7]
	v_mov_b32_e32 v9, v25
	v_lshlrev_b64 v[8:9], 2, v[8:9]
	v_mov_b32_e32 v10, s13
	v_add_co_u32_e32 v8, vcc, s12, v8
	v_addc_co_u32_e32 v9, vcc, v10, v9, vcc
	global_load_dword v8, v[8:9], off
.LBB2_20:                               ;   in Loop: Header=BB2_13 Depth=1
	s_or_b64 exec, exec, s[6:7]
	s_and_b64 vcc, exec, s[4:5]
	s_waitcnt vmcnt(0)
	ds_write_b32 v15, v8
	s_waitcnt lgkmcnt(0)
	s_cbranch_vccnz .LBB2_38
; %bb.21:                               ;   in Loop: Header=BB2_13 Depth=1
	s_andn2_b64 vcc, exec, s[42:43]
	s_mov_b32 s49, 0
	s_cbranch_vccnz .LBB2_32
; %bb.22:                               ;   in Loop: Header=BB2_13 Depth=1
	s_mov_b32 s47, 0
	v_mov_b32_e32 v8, v24
	v_mov_b32_e32 v9, v23
	;; [unrolled: 1-line block ×5, first 2 shown]
	s_mov_b32 s48, 0
	s_branch .LBB2_24
.LBB2_23:                               ;   in Loop: Header=BB2_24 Depth=2
	s_or_b64 exec, exec, s[6:7]
	s_add_i32 s48, s48, 2
	s_addk_i32 s47, 0x50
	v_add_u32_e32 v12, 0x48, v12
	v_add_u32_e32 v11, 0x48, v11
	;; [unrolled: 1-line block ×5, first 2 shown]
	s_cmp_eq_u32 s33, s48
	s_mov_b32 s49, s33
	s_waitcnt lgkmcnt(0)
	s_cbranch_scc1 .LBB2_32
.LBB2_24:                               ;   Parent Loop BB2_13 Depth=1
                                        ; =>  This Inner Loop Header: Depth=2
	v_mov_b32_e32 v13, s47
	ds_read_b32 v13, v13
	ds_read_b32 v27, v10
	s_waitcnt lgkmcnt(0)
	v_div_scale_f32 v28, s[6:7], v13, v13, v27
	v_rcp_f32_e32 v29, v28
	v_div_scale_f32 v30, vcc, v27, v13, v27
	v_fma_f32 v31, -v28, v29, 1.0
	v_fmac_f32_e32 v29, v31, v29
	v_mul_f32_e32 v31, v30, v29
	v_fma_f32 v32, -v28, v31, v30
	v_fmac_f32_e32 v31, v32, v29
	v_fma_f32 v28, -v28, v31, v30
	v_div_fmas_f32 v28, v28, v29, v31
	v_div_fixup_f32 v27, v28, v13, v27
	s_and_saveexec_b64 s[6:7], s[2:3]
	s_cbranch_execz .LBB2_26
; %bb.25:                               ;   in Loop: Header=BB2_24 Depth=2
	ds_write_b32 v10, v27
.LBB2_26:                               ;   in Loop: Header=BB2_24 Depth=2
	s_or_b64 exec, exec, s[6:7]
	v_add_u32_e32 v13, s48, v14
	v_add_u32_e32 v28, 1, v13
	v_cmp_gt_i32_e32 vcc, s23, v28
	s_and_saveexec_b64 s[6:7], vcc
	s_cbranch_execz .LBB2_28
; %bb.27:                               ;   in Loop: Header=BB2_24 Depth=2
	ds_read_b32 v28, v8
	ds_read_b32 v29, v11
	s_waitcnt lgkmcnt(0)
	v_fma_f32 v27, -v27, v28, v29
	ds_write_b32 v11, v27
.LBB2_28:                               ;   in Loop: Header=BB2_24 Depth=2
	s_or_b64 exec, exec, s[6:7]
	v_mov_b32_e32 v27, s47
	s_waitcnt lgkmcnt(0)
	ds_read_b32 v27, v27 offset:40
	ds_read_b32 v28, v10 offset:36
	s_waitcnt lgkmcnt(0)
	v_div_scale_f32 v29, s[6:7], v27, v27, v28
	v_rcp_f32_e32 v30, v29
	v_div_scale_f32 v31, vcc, v28, v27, v28
	v_fma_f32 v32, -v29, v30, 1.0
	v_fmac_f32_e32 v30, v32, v30
	v_mul_f32_e32 v32, v31, v30
	v_fma_f32 v33, -v29, v32, v31
	v_fmac_f32_e32 v32, v33, v30
	v_fma_f32 v29, -v29, v32, v31
	v_div_fmas_f32 v29, v29, v30, v32
	v_div_fixup_f32 v27, v29, v27, v28
	s_and_saveexec_b64 s[6:7], s[2:3]
	s_cbranch_execz .LBB2_30
; %bb.29:                               ;   in Loop: Header=BB2_24 Depth=2
	ds_write_b32 v10, v27 offset:36
.LBB2_30:                               ;   in Loop: Header=BB2_24 Depth=2
	s_or_b64 exec, exec, s[6:7]
	v_add_u32_e32 v13, 2, v13
	v_cmp_gt_i32_e32 vcc, s23, v13
	s_and_saveexec_b64 s[6:7], vcc
	s_cbranch_execz .LBB2_23
; %bb.31:                               ;   in Loop: Header=BB2_24 Depth=2
	ds_read_b32 v13, v9
	ds_read_b32 v28, v12
	s_waitcnt lgkmcnt(0)
	v_fma_f32 v13, -v27, v13, v28
	ds_write_b32 v12, v13
	s_branch .LBB2_23
.LBB2_32:                               ;   in Loop: Header=BB2_13 Depth=1
	s_andn2_b64 vcc, exec, s[44:45]
	s_cbranch_vccnz .LBB2_38
; %bb.33:                               ;   in Loop: Header=BB2_13 Depth=1
	s_lshl_b32 s6, s49, 2
	s_mul_i32 s7, s49, 36
	s_add_i32 s47, s7, s6
	v_mov_b32_e32 v8, s47
	v_lshl_add_u32 v9, v7, 2, s7
	ds_read_b32 v10, v8
	ds_read_b32 v11, v9 offset:288
	v_add_u32_e32 v8, 0x120, v9
	s_waitcnt lgkmcnt(0)
	v_div_scale_f32 v12, s[6:7], v10, v10, v11
	v_rcp_f32_e32 v13, v12
	v_div_scale_f32 v9, vcc, v11, v10, v11
	v_fma_f32 v27, -v12, v13, 1.0
	v_fmac_f32_e32 v13, v27, v13
	v_mul_f32_e32 v27, v9, v13
	v_fma_f32 v28, -v12, v27, v9
	v_fmac_f32_e32 v27, v28, v13
	v_fma_f32 v9, -v12, v27, v9
	v_div_fmas_f32 v9, v9, v13, v27
	v_div_fixup_f32 v9, v9, v10, v11
	s_and_saveexec_b64 s[6:7], s[2:3]
	s_cbranch_execz .LBB2_35
; %bb.34:                               ;   in Loop: Header=BB2_13 Depth=1
	ds_write_b32 v8, v9
.LBB2_35:                               ;   in Loop: Header=BB2_13 Depth=1
	s_or_b64 exec, exec, s[6:7]
	v_add3_u32 v10, s49, 1, v14
	v_cmp_gt_i32_e32 vcc, s23, v10
	s_and_saveexec_b64 s[6:7], vcc
	s_cbranch_execz .LBB2_37
; %bb.36:                               ;   in Loop: Header=BB2_13 Depth=1
	v_add_u32_e32 v10, s47, v19
	v_add_u32_e32 v8, v8, v19
	ds_read_b32 v10, v10 offset:36
	ds_read_b32 v11, v8 offset:36
	s_waitcnt lgkmcnt(0)
	v_fma_f32 v9, -v9, v10, v11
	ds_write_b32 v8, v9 offset:36
.LBB2_37:                               ;   in Loop: Header=BB2_13 Depth=1
	s_or_b64 exec, exec, s[6:7]
	s_waitcnt lgkmcnt(0)
.LBB2_38:                               ;   in Loop: Header=BB2_13 Depth=1
	s_and_saveexec_b64 s[6:7], s[0:1]
	s_cbranch_execz .LBB2_40
; %bb.39:                               ;   in Loop: Header=BB2_13 Depth=1
	s_mul_i32 s47, s38, s23
	v_add_u32_e32 v8, s47, v4
	ds_read_b32 v10, v16
	v_mad_u64_u32 v[8:9], s[48:49], v8, s23, v[6:7]
	v_mov_b32_e32 v9, v25
	v_lshlrev_b64 v[8:9], 2, v[8:9]
	v_mov_b32_e32 v11, s13
	v_add_co_u32_e32 v8, vcc, s12, v8
	v_addc_co_u32_e32 v9, vcc, v11, v9, vcc
	s_waitcnt lgkmcnt(0)
	global_store_dword v[8:9], v10, off
.LBB2_40:                               ;   in Loop: Header=BB2_13 Depth=1
	s_or_b64 exec, exec, s[6:7]
	s_sub_i32 s57, s46, s24
	s_add_i32 s46, s39, 1
	s_cmp_ge_i32 s46, s57
	s_cbranch_scc1 .LBB2_12
; %bb.41:                               ;   in Loop: Header=BB2_13 Depth=1
	s_load_dword s6, s[40:41], 0xc
	v_mov_b32_e32 v12, s11
	s_waitcnt lgkmcnt(0)
	s_and_b32 s6, s6, 0xffff
	v_mad_u32_u24 v8, v14, s6, v18
	v_ashrrev_i32_e32 v9, 31, v8
	v_lshlrev_b64 v[10:11], 2, v[8:9]
	v_add_co_u32_e32 v10, vcc, s10, v10
	v_cmp_gt_i32_e64 s[6:7], s25, v8
	v_addc_co_u32_e32 v11, vcc, v12, v11, vcc
	s_branch .LBB2_44
.LBB2_42:                               ;   in Loop: Header=BB2_44 Depth=2
	s_or_b64 exec, exec, s[48:49]
.LBB2_43:                               ;   in Loop: Header=BB2_44 Depth=2
	s_add_i32 s46, s46, 1
	s_cmp_lt_i32 s46, s57
	s_cbranch_scc0 .LBB2_12
.LBB2_44:                               ;   Parent Loop BB2_13 Depth=1
                                        ; =>  This Loop Header: Depth=2
                                        ;       Child Loop BB2_49 Depth 3
                                        ;       Child Loop BB2_57 Depth 3
	s_ashr_i32 s47, s46, 31
	s_lshl_b64 s[48:49], s[46:47], 2
	s_add_u32 s48, s10, s48
	s_addc_u32 s49, s11, s49
	global_load_dword v9, v25, s[48:49]
	v_mov_b32_e32 v13, s31
	s_and_saveexec_b64 s[48:49], s[6:7]
	s_cbranch_execz .LBB2_46
; %bb.45:                               ;   in Loop: Header=BB2_44 Depth=2
	global_load_dword v12, v[10:11], off
	s_waitcnt vmcnt(0)
	v_subrev_u32_e32 v13, s24, v12
.LBB2_46:                               ;   in Loop: Header=BB2_44 Depth=2
	s_or_b64 exec, exec, s[48:49]
	s_waitcnt vmcnt(0)
	v_subrev_u32_e32 v9, s24, v9
	v_cmp_lt_i32_e32 vcc, v13, v9
	v_mov_b32_e32 v27, v8
	s_and_saveexec_b64 s[48:49], vcc
	s_cbranch_execz .LBB2_52
; %bb.47:                               ;   in Loop: Header=BB2_44 Depth=2
	s_mov_b64 s[50:51], 0
	v_mov_b32_e32 v12, v8
	s_branch .LBB2_49
.LBB2_48:                               ;   in Loop: Header=BB2_49 Depth=3
	s_or_b64 exec, exec, s[52:53]
	v_cmp_ge_i32_e32 vcc, v13, v9
	s_or_b64 s[50:51], vcc, s[50:51]
	v_mov_b32_e32 v12, v27
	s_andn2_b64 exec, exec, s[50:51]
	s_cbranch_execz .LBB2_51
.LBB2_49:                               ;   Parent Loop BB2_13 Depth=1
                                        ;     Parent Loop BB2_44 Depth=2
                                        ; =>    This Inner Loop Header: Depth=3
	v_add_u32_e32 v27, 64, v12
	v_cmp_gt_i32_e32 vcc, s25, v27
	v_mov_b32_e32 v13, s31
	s_and_saveexec_b64 s[52:53], vcc
	s_cbranch_execz .LBB2_48
; %bb.50:                               ;   in Loop: Header=BB2_49 Depth=3
	v_ashrrev_i32_e32 v13, 31, v12
	v_lshlrev_b64 v[12:13], 2, v[12:13]
	v_mov_b32_e32 v28, s56
	v_add_co_u32_e32 v12, vcc, s55, v12
	v_addc_co_u32_e32 v13, vcc, v28, v13, vcc
	global_load_dword v12, v[12:13], off
	s_waitcnt vmcnt(0)
	v_subrev_u32_e32 v13, s24, v12
	s_branch .LBB2_48
.LBB2_51:                               ;   in Loop: Header=BB2_44 Depth=2
	s_or_b64 exec, exec, s[50:51]
.LBB2_52:                               ;   in Loop: Header=BB2_44 Depth=2
	s_or_b64 exec, exec, s[48:49]
	v_cmp_eq_u32_e32 vcc, v13, v9
	s_cbranch_vccz .LBB2_43
; %bb.53:                               ;   in Loop: Header=BB2_44 Depth=2
	s_ff1_i32_b64 s39, vcc
	v_and_or_b32 v9, v26, 64, s39
	v_lshlrev_b32_e32 v9, 2, v9
	ds_bpermute_b32 v12, v9, v27
	v_mov_b32_e32 v9, 0
	v_mov_b32_e32 v13, 0
	s_and_saveexec_b64 s[48:49], s[0:1]
	s_cbranch_execz .LBB2_55
; %bb.54:                               ;   in Loop: Header=BB2_44 Depth=2
	s_mul_i32 s39, s46, s23
	v_add_u32_e32 v13, s39, v4
	v_mad_u64_u32 v[28:29], s[50:51], v13, s23, v[6:7]
	v_mov_b32_e32 v29, v25
	v_lshlrev_b64 v[28:29], 2, v[28:29]
	v_mov_b32_e32 v13, s13
	v_add_co_u32_e32 v28, vcc, s12, v28
	v_addc_co_u32_e32 v29, vcc, v13, v29, vcc
	global_load_dword v13, v[28:29], off
.LBB2_55:                               ;   in Loop: Header=BB2_44 Depth=2
	s_or_b64 exec, exec, s[48:49]
	s_and_b64 vcc, exec, s[4:5]
	s_waitcnt vmcnt(0)
	ds_write_b32 v15, v13
	s_waitcnt lgkmcnt(0)
	s_cbranch_vccnz .LBB2_58
; %bb.56:                               ;   in Loop: Header=BB2_44 Depth=2
	v_mov_b32_e32 v9, 0
	v_mov_b32_e32 v13, v22
	;; [unrolled: 1-line block ×3, first 2 shown]
	s_mov_b32 s39, s23
.LBB2_57:                               ;   Parent Loop BB2_13 Depth=1
                                        ;     Parent Loop BB2_44 Depth=2
                                        ; =>    This Inner Loop Header: Depth=3
	ds_read_b32 v28, v13
	ds_read_b32 v29, v27
	s_add_i32 s39, s39, -1
	v_add_u32_e32 v27, 4, v27
	v_add_u32_e32 v13, 36, v13
	s_cmp_eq_u32 s39, 0
	s_waitcnt lgkmcnt(0)
	v_fmac_f32_e32 v9, v28, v29
	s_cbranch_scc0 .LBB2_57
.LBB2_58:                               ;   in Loop: Header=BB2_44 Depth=2
	s_and_saveexec_b64 s[48:49], s[0:1]
	s_cbranch_execz .LBB2_42
; %bb.59:                               ;   in Loop: Header=BB2_44 Depth=2
	v_mad_u64_u32 v[12:13], s[50:51], v12, s23, v[4:5]
	v_mad_u64_u32 v[12:13], s[50:51], v12, s23, v[6:7]
	v_mov_b32_e32 v13, v25
	v_lshlrev_b64 v[12:13], 2, v[12:13]
	v_mov_b32_e32 v27, s13
	v_add_co_u32_e32 v12, vcc, s12, v12
	v_addc_co_u32_e32 v13, vcc, v27, v13, vcc
	global_load_dword v27, v[12:13], off
	s_waitcnt vmcnt(0)
	v_sub_f32_e32 v9, v27, v9
	global_store_dword v[12:13], v9, off
	s_branch .LBB2_42
.LBB2_60:
	s_ashr_i32 s31, s30, 31
	s_lshl_b64 s[0:1], s[30:31], 2
	s_add_u32 s0, s10, s0
	s_addc_u32 s1, s11, s1
	v_mov_b32_e32 v8, 0
	global_load_dword v4, v8, s[0:1]
	s_waitcnt vmcnt(0)
	v_subrev_u32_e32 v4, s24, v4
	v_cmp_ne_u32_e32 vcc, s22, v4
	s_cbranch_vccnz .LBB2_86
; %bb.61:
	v_and_b32_e32 v4, 0x3ff, v0
	v_bfe_u32 v6, v0, 10, 10
	v_max_u32_e32 v7, v4, v6
	v_cmp_gt_u32_e64 s[0:1], s23, v7
	s_and_saveexec_b64 s[2:3], s[0:1]
	s_cbranch_execz .LBB2_63
; %bb.62:
	s_cmp_eq_u32 s34, 0
	s_cselect_b64 vcc, -1, 0
	s_mul_i32 s4, s30, s23
	v_cndmask_b32_e32 v7, v6, v4, vcc
	v_cndmask_b32_e32 v8, v4, v6, vcc
	v_add_u32_e32 v7, s4, v7
	v_mad_u64_u32 v[8:9], s[4:5], v7, s23, v[8:9]
	v_mov_b32_e32 v9, 0
	v_lshlrev_b64 v[8:9], 2, v[8:9]
	v_mov_b32_e32 v7, s13
	v_add_co_u32_e32 v8, vcc, s12, v8
	v_addc_co_u32_e32 v9, vcc, v7, v9, vcc
	global_load_dword v8, v[8:9], off
.LBB2_63:
	s_or_b64 exec, exec, s[2:3]
	v_lshlrev_b32_e32 v7, 2, v4
	v_mad_u32_u24 v7, v6, 36, v7
	s_cmp_lt_i32 s23, 1
	s_waitcnt vmcnt(0)
	ds_write_b32 v7, v8
	s_waitcnt lgkmcnt(0)
	s_cbranch_scc1 .LBB2_83
; %bb.64:
	s_cmp_eq_u64 s[16:17], 8
	v_cvt_f64_f32_e32 v[8:9], v5
	s_cselect_b64 vcc, -1, 0
	v_or_b32_e32 v5, v4, v6
	v_cndmask_b32_e32 v2, v8, v2, vcc
	v_cmp_eq_u32_e64 s[2:3], 0, v5
	v_mul_u32_u24_e32 v5, 9, v6
	v_cndmask_b32_e64 v8, 0, 1, s[36:37]
	v_cndmask_b32_e32 v3, v9, v3, vcc
	s_mov_b32 s16, 0
	v_cmp_eq_u32_e64 s[4:5], 0, v6
	v_cmp_ne_u32_e64 s[6:7], 1, v8
	v_lshlrev_b32_e32 v5, 2, v5
.LBB2_65:                               ; =>This Inner Loop Header: Depth=1
	s_lshl_b32 s8, s16, 2
	s_mul_i32 s17, s16, 36
	s_add_i32 s17, s17, s8
	v_mov_b32_e32 v8, s17
	s_waitcnt lgkmcnt(0)
	ds_read_b32 v9, v8
	s_and_b64 vcc, exec, s[6:7]
	s_mov_b64 s[8:9], 0
	s_cbranch_vccnz .LBB2_69
; %bb.66:                               ;   in Loop: Header=BB2_65 Depth=1
	s_waitcnt lgkmcnt(0)
	v_cmp_gt_f32_e32 vcc, 0, v9
	v_cndmask_b32_e64 v8, v9, -v9, vcc
	v_cvt_f64_f32_e32 v[10:11], v8
	v_cmp_ge_f64_e32 vcc, v[2:3], v[10:11]
	v_cndmask_b32_e32 v8, v9, v1, vcc
	s_and_saveexec_b64 s[10:11], s[2:3]
	s_cbranch_execz .LBB2_68
; %bb.67:                               ;   in Loop: Header=BB2_65 Depth=1
	v_mov_b32_e32 v10, s17
	ds_write_b32 v10, v8
.LBB2_68:                               ;   in Loop: Header=BB2_65 Depth=1
	s_or_b64 exec, exec, s[10:11]
	s_mov_b64 s[10:11], -1
	s_cbranch_execz .LBB2_70
	s_branch .LBB2_71
.LBB2_69:                               ;   in Loop: Header=BB2_65 Depth=1
	s_mov_b64 s[10:11], 0
                                        ; implicit-def: $vgpr8
.LBB2_70:                               ;   in Loop: Header=BB2_65 Depth=1
	s_waitcnt lgkmcnt(0)
	v_cmp_neq_f32_e64 s[10:11], 0, v9
	s_mov_b64 s[8:9], -1
	v_mov_b32_e32 v8, v9
.LBB2_71:                               ;   in Loop: Header=BB2_65 Depth=1
	s_andn2_b64 vcc, exec, s[10:11]
                                        ; implicit-def: $sgpr14
	s_cbranch_vccz .LBB2_74
; %bb.72:                               ;   in Loop: Header=BB2_65 Depth=1
	s_andn2_b64 vcc, exec, s[8:9]
	s_cbranch_vccz .LBB2_80
.LBB2_73:                               ;   in Loop: Header=BB2_65 Depth=1
	s_cmp_eq_u32 s14, s23
	s_cbranch_scc0 .LBB2_81
	s_branch .LBB2_83
.LBB2_74:                               ;   in Loop: Header=BB2_65 Depth=1
	s_add_i32 s14, s16, 1
	s_waitcnt lgkmcnt(0)
	v_add_u32_e32 v9, s14, v4
	v_cmp_gt_i32_e32 vcc, s23, v9
	s_and_saveexec_b64 s[8:9], vcc
	s_cbranch_execz .LBB2_79
; %bb.75:                               ;   in Loop: Header=BB2_65 Depth=1
	v_lshl_add_u32 v9, v4, 2, s17
	ds_read_b32 v10, v9 offset:4
	s_waitcnt lgkmcnt(0)
	v_div_scale_f32 v11, s[10:11], v8, v8, v10
	v_rcp_f32_e32 v12, v11
	v_div_scale_f32 v13, vcc, v10, v8, v10
	v_fma_f32 v14, -v11, v12, 1.0
	v_fmac_f32_e32 v12, v14, v12
	v_mul_f32_e32 v14, v13, v12
	v_fma_f32 v15, -v11, v14, v13
	v_fmac_f32_e32 v14, v15, v12
	v_fma_f32 v11, -v11, v14, v13
	v_div_fmas_f32 v11, v11, v12, v14
	v_div_fixup_f32 v8, v11, v8, v10
	s_and_saveexec_b64 s[10:11], s[4:5]
	s_cbranch_execz .LBB2_77
; %bb.76:                               ;   in Loop: Header=BB2_65 Depth=1
	ds_write_b32 v9, v8 offset:4
.LBB2_77:                               ;   in Loop: Header=BB2_65 Depth=1
	s_or_b64 exec, exec, s[10:11]
	v_add_u32_e32 v10, s14, v6
	v_cmp_gt_i32_e32 vcc, s23, v10
	s_and_b64 exec, exec, vcc
	s_cbranch_execz .LBB2_79
; %bb.78:                               ;   in Loop: Header=BB2_65 Depth=1
	v_add_u32_e32 v10, s17, v5
	v_add_u32_e32 v9, v9, v5
	ds_read_b32 v10, v10 offset:36
	ds_read_b32 v11, v9 offset:40
	s_waitcnt lgkmcnt(0)
	v_fma_f32 v8, -v8, v10, v11
	ds_write_b32 v9, v8 offset:40
.LBB2_79:                               ;   in Loop: Header=BB2_65 Depth=1
	s_or_b64 exec, exec, s[8:9]
	s_cbranch_execnz .LBB2_73
.LBB2_80:                               ;   in Loop: Header=BB2_65 Depth=1
	s_add_i32 s14, s16, 1
	s_mov_b64 s[28:29], -1
	s_cmp_eq_u32 s14, s23
	s_cbranch_scc1 .LBB2_83
.LBB2_81:                               ;   in Loop: Header=BB2_65 Depth=1
	s_mov_b32 s16, s14
	s_branch .LBB2_65
.LBB2_82:
	s_mov_b64 s[28:29], -1
	s_branch .LBB2_110
.LBB2_83:
	s_waitcnt lgkmcnt(0)
	s_and_saveexec_b64 s[2:3], s[0:1]
	s_cbranch_execz .LBB2_85
; %bb.84:
	s_cmp_eq_u32 s34, 0
	s_cselect_b64 vcc, -1, 0
	s_mul_i32 s0, s30, s23
	v_cndmask_b32_e32 v3, v6, v4, vcc
	v_cndmask_b32_e32 v2, v4, v6, vcc
	v_add_u32_e32 v3, s0, v3
	ds_read_b32 v1, v7
	v_mad_u64_u32 v[2:3], s[0:1], v3, s23, v[2:3]
	v_mov_b32_e32 v3, 0
	v_lshlrev_b64 v[2:3], 2, v[2:3]
	v_mov_b32_e32 v4, s13
	v_add_co_u32_e32 v2, vcc, s12, v2
	v_addc_co_u32_e32 v3, vcc, v4, v3, vcc
	s_waitcnt lgkmcnt(0)
	global_store_dword v[2:3], v1, off
.LBB2_85:
	s_or_b64 exec, exec, s[2:3]
.LBB2_86:
	s_add_i32 s10, s30, 1
	s_cmp_ge_i32 s10, s25
	s_cbranch_scc1 .LBB2_110
; %bb.87:
	s_cmp_eq_u32 s34, 0
	s_cselect_b64 vcc, -1, 0
	s_cmp_gt_i32 s23, 0
	s_cselect_b64 s[2:3], -1, 0
	s_add_i32 s4, s23, -1
	s_and_b32 s11, s23, 3
	v_bfe_u32 v1, v0, 10, 10
	v_and_b32_e32 v4, 0x3ff, v0
	s_cmp_gt_u32 s4, 2
	s_cselect_b64 s[4:5], -1, 0
	s_and_b32 s14, s23, 0x7ffffffc
	v_lshlrev_b32_e32 v8, 2, v1
	v_mul_u32_u24_e32 v6, 36, v4
	s_movk_i32 s6, 0x124
	s_cmp_lg_u32 s11, 0
	v_add3_u32 v10, v6, v8, s6
	v_cndmask_b32_e64 v6, 0, 1, s[2:3]
	v_lshlrev_b32_e32 v2, 2, v4
	v_mul_u32_u24_e32 v3, 36, v1
	s_movk_i32 s0, 0x120
	v_cmp_ne_u32_e64 s[2:3], 1, v6
	v_cndmask_b32_e64 v6, 0, 1, s[4:5]
	s_cselect_b64 s[6:7], -1, 0
	v_add3_u32 v3, v3, v2, s0
	v_max_u32_e32 v2, v4, v1
	v_mov_b32_e32 v7, 0x120
	v_cmp_ne_u32_e64 s[4:5], 1, v6
	v_cndmask_b32_e64 v6, 0, 1, s[6:7]
	v_cmp_gt_u32_e64 s[0:1], s23, v2
	v_cndmask_b32_e32 v5, v1, v4, vcc
	v_cndmask_b32_e32 v2, v4, v1, vcc
	v_mad_u32_u24 v9, v4, 36, v7
	v_add_u32_e32 v4, 4, v8
	v_mov_b32_e32 v11, 0
	v_cmp_ne_u32_e64 s[6:7], 1, v6
	s_branch .LBB2_89
.LBB2_88:                               ;   in Loop: Header=BB2_89 Depth=1
	s_or_b64 exec, exec, s[8:9]
	s_add_i32 s10, s10, 1
	s_cmp_lt_i32 s10, s25
	s_cbranch_scc0 .LBB2_110
.LBB2_89:                               ; =>This Loop Header: Depth=1
                                        ;     Child Loop BB2_95 Depth 2
                                        ;     Child Loop BB2_106 Depth 2
	s_mul_i32 s8, s10, s23
	v_add_u32_e32 v12, s8, v5
	v_mov_b32_e32 v6, 0
	s_waitcnt lgkmcnt(0)
	s_and_saveexec_b64 s[8:9], s[0:1]
	s_cbranch_execz .LBB2_91
; %bb.90:                               ;   in Loop: Header=BB2_89 Depth=1
	v_mad_u64_u32 v[6:7], s[16:17], v12, s23, v[2:3]
	v_mov_b32_e32 v7, v11
	v_lshlrev_b64 v[6:7], 2, v[6:7]
	v_mov_b32_e32 v13, s13
	v_add_co_u32_e32 v6, vcc, s12, v6
	v_addc_co_u32_e32 v7, vcc, v13, v7, vcc
	global_load_dword v6, v[6:7], off
.LBB2_91:                               ;   in Loop: Header=BB2_89 Depth=1
	s_or_b64 exec, exec, s[8:9]
	s_and_b64 vcc, exec, s[2:3]
	s_waitcnt vmcnt(0)
	ds_write_b32 v3, v6
	s_waitcnt lgkmcnt(0)
	s_cbranch_vccnz .LBB2_108
; %bb.92:                               ;   in Loop: Header=BB2_89 Depth=1
	s_and_b64 vcc, exec, s[4:5]
	s_mov_b32 s8, 0
	s_cbranch_vccnz .LBB2_103
; %bb.93:                               ;   in Loop: Header=BB2_89 Depth=1
	s_mov_b32 s15, 0
	s_mov_b32 s16, 4
	v_mov_b32_e32 v6, v9
	s_branch .LBB2_95
.LBB2_94:                               ;   in Loop: Header=BB2_95 Depth=2
	s_or_b64 exec, exec, s[8:9]
	s_add_i32 s15, s15, 4
	s_addk_i32 s16, 0xa0
	v_add_u32_e32 v6, 16, v6
	s_cmp_eq_u32 s14, s15
	s_mov_b32 s8, s14
	s_cbranch_scc1 .LBB2_103
.LBB2_95:                               ;   Parent Loop BB2_89 Depth=1
                                        ; =>  This Inner Loop Header: Depth=2
	v_add_u32_e32 v14, s15, v1
	v_add_u32_e32 v7, 1, v14
	v_cmp_gt_i32_e32 vcc, s23, v7
	v_add_u32_e32 v13, s16, v8
	v_add_u32_e32 v7, v6, v8
	s_and_saveexec_b64 s[8:9], vcc
	s_cbranch_execz .LBB2_97
; %bb.96:                               ;   in Loop: Header=BB2_95 Depth=2
	ds_read_b32 v15, v13
	ds_read_b32 v16, v6
	ds_read_b32 v17, v7 offset:4
	s_waitcnt lgkmcnt(0)
	v_fma_f32 v15, -v15, v16, v17
	ds_write_b32 v7, v15 offset:4
.LBB2_97:                               ;   in Loop: Header=BB2_95 Depth=2
	s_or_b64 exec, exec, s[8:9]
	v_add_u32_e32 v15, 2, v14
	v_cmp_gt_i32_e32 vcc, s23, v15
	s_and_saveexec_b64 s[8:9], vcc
	s_cbranch_execz .LBB2_99
; %bb.98:                               ;   in Loop: Header=BB2_95 Depth=2
	ds_read_b32 v15, v13 offset:40
	ds_read_b32 v16, v6 offset:4
	ds_read_b32 v17, v7 offset:8
	s_waitcnt lgkmcnt(0)
	v_fma_f32 v15, -v15, v16, v17
	ds_write_b32 v7, v15 offset:8
.LBB2_99:                               ;   in Loop: Header=BB2_95 Depth=2
	s_or_b64 exec, exec, s[8:9]
	v_add_u32_e32 v15, 3, v14
	v_cmp_gt_i32_e32 vcc, s23, v15
	s_and_saveexec_b64 s[8:9], vcc
	s_cbranch_execz .LBB2_101
; %bb.100:                              ;   in Loop: Header=BB2_95 Depth=2
	ds_read_b32 v15, v13 offset:80
	ds_read_b32 v16, v6 offset:8
	;; [unrolled: 1-line block ×3, first 2 shown]
	s_waitcnt lgkmcnt(0)
	v_fma_f32 v15, -v15, v16, v17
	ds_write_b32 v7, v15 offset:12
.LBB2_101:                              ;   in Loop: Header=BB2_95 Depth=2
	s_or_b64 exec, exec, s[8:9]
	v_add_u32_e32 v14, 4, v14
	v_cmp_gt_i32_e32 vcc, s23, v14
	s_and_saveexec_b64 s[8:9], vcc
	s_cbranch_execz .LBB2_94
; %bb.102:                              ;   in Loop: Header=BB2_95 Depth=2
	ds_read_b32 v13, v13 offset:120
	ds_read_b32 v14, v6 offset:12
	;; [unrolled: 1-line block ×3, first 2 shown]
	s_waitcnt lgkmcnt(0)
	v_fma_f32 v13, -v13, v14, v15
	ds_write_b32 v7, v13 offset:16
	s_branch .LBB2_94
.LBB2_103:                              ;   in Loop: Header=BB2_89 Depth=1
	s_and_b64 vcc, exec, s[6:7]
	s_cbranch_vccnz .LBB2_108
; %bb.104:                              ;   in Loop: Header=BB2_89 Depth=1
	v_mad_u64_u32 v[6:7], s[16:17], s8, 40, v[4:5]
	v_add_u32_e32 v7, s8, v1
	s_lshl_b32 s8, s8, 2
	v_add_u32_e32 v13, s8, v10
	v_add_u32_e32 v14, s8, v9
	s_mov_b32 s15, s11
	s_branch .LBB2_106
.LBB2_105:                              ;   in Loop: Header=BB2_106 Depth=2
	s_or_b64 exec, exec, s[8:9]
	s_add_i32 s15, s15, -1
	v_add_u32_e32 v6, 40, v6
	v_add_u32_e32 v13, 4, v13
	s_cmp_lg_u32 s15, 0
	v_add_u32_e32 v14, 4, v14
	s_cbranch_scc0 .LBB2_108
.LBB2_106:                              ;   Parent Loop BB2_89 Depth=1
                                        ; =>  This Inner Loop Header: Depth=2
	v_add_u32_e32 v7, 1, v7
	v_cmp_gt_i32_e32 vcc, s23, v7
	s_and_saveexec_b64 s[8:9], vcc
	s_cbranch_execz .LBB2_105
; %bb.107:                              ;   in Loop: Header=BB2_106 Depth=2
	ds_read_b32 v15, v6
	ds_read_b32 v16, v14
	;; [unrolled: 1-line block ×3, first 2 shown]
	s_waitcnt lgkmcnt(0)
	v_fma_f32 v15, -v15, v16, v17
	ds_write_b32 v13, v15
	s_branch .LBB2_105
.LBB2_108:                              ;   in Loop: Header=BB2_89 Depth=1
	s_waitcnt lgkmcnt(0)
	s_and_saveexec_b64 s[8:9], s[0:1]
	s_cbranch_execz .LBB2_88
; %bb.109:                              ;   in Loop: Header=BB2_89 Depth=1
	ds_read_b32 v13, v3
	v_mad_u64_u32 v[6:7], s[16:17], v12, s23, v[2:3]
	v_mov_b32_e32 v7, v11
	v_lshlrev_b64 v[6:7], 2, v[6:7]
	v_mov_b32_e32 v12, s13
	v_add_co_u32_e32 v6, vcc, s12, v6
	v_addc_co_u32_e32 v7, vcc, v12, v7, vcc
	s_waitcnt lgkmcnt(0)
	global_store_dword v[6:7], v13, off
	s_branch .LBB2_88
.LBB2_110:
	v_and_b32_e32 v1, 0x3ff, v0
	v_bfe_u32 v0, v0, 10, 10
	v_or_b32_e32 v0, v1, v0
	v_cmp_eq_u32_e32 vcc, 0, v0
	s_and_saveexec_b64 s[0:1], vcc
	s_cbranch_execz .LBB2_114
; %bb.111:
	s_add_u32 s0, s20, s26
	s_addc_u32 s1, s21, s27
	v_mov_b32_e32 v0, 0
	v_mov_b32_e32 v1, 1
	s_andn2_b64 vcc, exec, s[28:29]
	s_waitcnt vmcnt(0)
	global_store_dword v0, v1, s[0:1]
	s_cbranch_vccnz .LBB2_114
; %bb.112:
	v_mbcnt_lo_u32_b32 v0, exec_lo, 0
	v_mbcnt_hi_u32_b32 v0, exec_hi, v0
	v_cmp_eq_u32_e32 vcc, 0, v0
	s_and_b64 exec, exec, vcc
	s_cbranch_execz .LBB2_114
; %bb.113:
	s_add_i32 s0, s22, s24
	v_mov_b32_e32 v0, 0
	v_mov_b32_e32 v1, s0
	global_atomic_smin v0, v1, s[18:19]
.LBB2_114:
	s_endpgm
	.section	.rodata,"a",@progbits
	.p2align	6, 0x0
	.amdhsa_kernel _ZN9rocsparseL11bsrilu0_2_8ILj64ELj64ELj8EfEEv20rocsparse_direction_iPKiS3_PT2_S3_iPiS3_S6_21rocsparse_index_base_imNS_24const_host_device_scalarIfEENS8_IdEENS8_IS4_EEb
		.amdhsa_group_segment_fixed_size 576
		.amdhsa_private_segment_fixed_size 0
		.amdhsa_kernarg_size 376
		.amdhsa_user_sgpr_count 6
		.amdhsa_user_sgpr_private_segment_buffer 1
		.amdhsa_user_sgpr_dispatch_ptr 0
		.amdhsa_user_sgpr_queue_ptr 0
		.amdhsa_user_sgpr_kernarg_segment_ptr 1
		.amdhsa_user_sgpr_dispatch_id 0
		.amdhsa_user_sgpr_flat_scratch_init 0
		.amdhsa_user_sgpr_kernarg_preload_length 0
		.amdhsa_user_sgpr_kernarg_preload_offset 0
		.amdhsa_user_sgpr_private_segment_size 0
		.amdhsa_uses_dynamic_stack 0
		.amdhsa_system_sgpr_private_segment_wavefront_offset 0
		.amdhsa_system_sgpr_workgroup_id_x 1
		.amdhsa_system_sgpr_workgroup_id_y 0
		.amdhsa_system_sgpr_workgroup_id_z 0
		.amdhsa_system_sgpr_workgroup_info 0
		.amdhsa_system_vgpr_workitem_id 1
		.amdhsa_next_free_vgpr 34
		.amdhsa_next_free_sgpr 58
		.amdhsa_accum_offset 36
		.amdhsa_reserve_vcc 1
		.amdhsa_reserve_flat_scratch 0
		.amdhsa_float_round_mode_32 0
		.amdhsa_float_round_mode_16_64 0
		.amdhsa_float_denorm_mode_32 3
		.amdhsa_float_denorm_mode_16_64 3
		.amdhsa_dx10_clamp 1
		.amdhsa_ieee_mode 1
		.amdhsa_fp16_overflow 0
		.amdhsa_tg_split 0
		.amdhsa_exception_fp_ieee_invalid_op 0
		.amdhsa_exception_fp_denorm_src 0
		.amdhsa_exception_fp_ieee_div_zero 0
		.amdhsa_exception_fp_ieee_overflow 0
		.amdhsa_exception_fp_ieee_underflow 0
		.amdhsa_exception_fp_ieee_inexact 0
		.amdhsa_exception_int_div_zero 0
	.end_amdhsa_kernel
	.section	.text._ZN9rocsparseL11bsrilu0_2_8ILj64ELj64ELj8EfEEv20rocsparse_direction_iPKiS3_PT2_S3_iPiS3_S6_21rocsparse_index_base_imNS_24const_host_device_scalarIfEENS8_IdEENS8_IS4_EEb,"axG",@progbits,_ZN9rocsparseL11bsrilu0_2_8ILj64ELj64ELj8EfEEv20rocsparse_direction_iPKiS3_PT2_S3_iPiS3_S6_21rocsparse_index_base_imNS_24const_host_device_scalarIfEENS8_IdEENS8_IS4_EEb,comdat
.Lfunc_end2:
	.size	_ZN9rocsparseL11bsrilu0_2_8ILj64ELj64ELj8EfEEv20rocsparse_direction_iPKiS3_PT2_S3_iPiS3_S6_21rocsparse_index_base_imNS_24const_host_device_scalarIfEENS8_IdEENS8_IS4_EEb, .Lfunc_end2-_ZN9rocsparseL11bsrilu0_2_8ILj64ELj64ELj8EfEEv20rocsparse_direction_iPKiS3_PT2_S3_iPiS3_S6_21rocsparse_index_base_imNS_24const_host_device_scalarIfEENS8_IdEENS8_IS4_EEb
                                        ; -- End function
	.section	.AMDGPU.csdata,"",@progbits
; Kernel info:
; codeLenInByte = 3932
; NumSgprs: 62
; NumVgprs: 34
; NumAgprs: 0
; TotalNumVgprs: 34
; ScratchSize: 0
; MemoryBound: 0
; FloatMode: 240
; IeeeMode: 1
; LDSByteSize: 576 bytes/workgroup (compile time only)
; SGPRBlocks: 7
; VGPRBlocks: 4
; NumSGPRsForWavesPerEU: 62
; NumVGPRsForWavesPerEU: 34
; AccumOffset: 36
; Occupancy: 8
; WaveLimiterHint : 1
; COMPUTE_PGM_RSRC2:SCRATCH_EN: 0
; COMPUTE_PGM_RSRC2:USER_SGPR: 6
; COMPUTE_PGM_RSRC2:TRAP_HANDLER: 0
; COMPUTE_PGM_RSRC2:TGID_X_EN: 1
; COMPUTE_PGM_RSRC2:TGID_Y_EN: 0
; COMPUTE_PGM_RSRC2:TGID_Z_EN: 0
; COMPUTE_PGM_RSRC2:TIDIG_COMP_CNT: 1
; COMPUTE_PGM_RSRC3_GFX90A:ACCUM_OFFSET: 8
; COMPUTE_PGM_RSRC3_GFX90A:TG_SPLIT: 0
	.section	.text._ZN9rocsparseL12bsrilu0_9_32ILj64ELj64ELj16EfEEv20rocsparse_direction_iPKiS3_PT2_S3_iPiS3_S6_21rocsparse_index_base_imNS_24const_host_device_scalarIfEENS8_IdEENS8_IS4_EEb,"axG",@progbits,_ZN9rocsparseL12bsrilu0_9_32ILj64ELj64ELj16EfEEv20rocsparse_direction_iPKiS3_PT2_S3_iPiS3_S6_21rocsparse_index_base_imNS_24const_host_device_scalarIfEENS8_IdEENS8_IS4_EEb,comdat
	.globl	_ZN9rocsparseL12bsrilu0_9_32ILj64ELj64ELj16EfEEv20rocsparse_direction_iPKiS3_PT2_S3_iPiS3_S6_21rocsparse_index_base_imNS_24const_host_device_scalarIfEENS8_IdEENS8_IS4_EEb ; -- Begin function _ZN9rocsparseL12bsrilu0_9_32ILj64ELj64ELj16EfEEv20rocsparse_direction_iPKiS3_PT2_S3_iPiS3_S6_21rocsparse_index_base_imNS_24const_host_device_scalarIfEENS8_IdEENS8_IS4_EEb
	.p2align	8
	.type	_ZN9rocsparseL12bsrilu0_9_32ILj64ELj64ELj16EfEEv20rocsparse_direction_iPKiS3_PT2_S3_iPiS3_S6_21rocsparse_index_base_imNS_24const_host_device_scalarIfEENS8_IdEENS8_IS4_EEb,@function
_ZN9rocsparseL12bsrilu0_9_32ILj64ELj64ELj16EfEEv20rocsparse_direction_iPKiS3_PT2_S3_iPiS3_S6_21rocsparse_index_base_imNS_24const_host_device_scalarIfEENS8_IdEENS8_IS4_EEb: ; @_ZN9rocsparseL12bsrilu0_9_32ILj64ELj64ELj16EfEEv20rocsparse_direction_iPKiS3_PT2_S3_iPiS3_S6_21rocsparse_index_base_imNS_24const_host_device_scalarIfEENS8_IdEENS8_IS4_EEb
; %bb.0:
	s_load_dword s0, s[4:5], 0x70
	s_load_dwordx2 s[34:35], s[4:5], 0x48
	s_load_dwordx8 s[36:43], s[4:5], 0x50
	s_waitcnt lgkmcnt(0)
	s_bitcmp1_b32 s0, 0
	s_cselect_b64 s[0:1], -1, 0
	s_cmp_lg_u32 s35, 0
	s_cselect_b64 s[52:53], -1, 0
	s_cmp_eq_u32 s35, 0
	s_cselect_b64 s[2:3], -1, 0
	s_and_b64 s[8:9], s[2:3], exec
	s_cselect_b32 s10, 0, s40
	s_cselect_b32 s11, 0, s41
	s_or_b64 s[0:1], s[2:3], s[0:1]
	s_xor_b64 s[8:9], s[0:1], -1
	s_and_b64 vcc, exec, s[0:1]
	s_cbranch_vccnz .LBB3_2
; %bb.1:
	s_load_dword s0, s[38:39], 0x0
	s_mov_b64 s[10:11], s[40:41]
	s_waitcnt lgkmcnt(0)
	v_mov_b32_e32 v17, s0
	s_branch .LBB3_3
.LBB3_2:
	v_mov_b32_e32 v1, s38
	v_cndmask_b32_e64 v17, v1, 0, s[2:3]
.LBB3_3:
	v_cndmask_b32_e64 v1, 0, 1, s[8:9]
	v_cmp_ne_u32_e64 s[0:1], 1, v1
	s_andn2_b64 vcc, exec, s[8:9]
	v_pk_mov_b32 v[2:3], s[10:11], s[10:11] op_sel:[0,1]
	s_cbranch_vccnz .LBB3_5
; %bb.4:
	v_pk_mov_b32 v[2:3], s[40:41], s[40:41] op_sel:[0,1]
	flat_load_dwordx2 v[2:3], v[2:3]
.LBB3_5:
	s_and_b64 vcc, exec, s[0:1]
	s_mov_b32 s7, 0
	s_cbranch_vccnz .LBB3_7
; %bb.6:
	s_load_dword s0, s[42:43], 0x0
	s_waitcnt lgkmcnt(0)
	v_mov_b32_e32 v16, s0
	s_branch .LBB3_8
.LBB3_7:
	v_mov_b32_e32 v1, s42
	v_cndmask_b32_e64 v16, v1, 0, s[2:3]
.LBB3_8:
	s_load_dwordx4 s[40:43], s[4:5], 0x30
	s_load_dwordx2 s[38:39], s[4:5], 0x40
	s_lshl_b64 s[0:1], s[6:7], 2
	s_waitcnt lgkmcnt(0)
	s_add_u32 s0, s42, s0
	s_addc_u32 s1, s43, s1
	s_load_dword s42, s[0:1], 0x0
	s_load_dwordx8 s[24:31], s[4:5], 0x8
	s_waitcnt lgkmcnt(0)
	s_ashr_i32 s43, s42, 31
	s_lshl_b64 s[44:45], s[42:43], 2
	s_add_u32 s0, s30, s44
	s_addc_u32 s1, s31, s45
	s_load_dword s48, s[0:1], 0x0
	s_waitcnt lgkmcnt(0)
	s_cmp_eq_u32 s48, -1
	s_cbranch_scc1 .LBB3_150
; %bb.9:
	s_add_u32 s0, s24, s44
	s_addc_u32 s1, s25, s45
	s_load_dwordx2 s[2:3], s[0:1], 0x0
	s_load_dwordx2 s[50:51], s[4:5], 0x0
	s_load_dword s33, s[4:5], 0x28
	s_mov_b64 s[46:47], 0
	s_waitcnt lgkmcnt(0)
	s_sub_i32 s54, s2, s34
	s_sub_i32 s35, s3, s34
	s_cmp_ge_i32 s54, s48
	s_cbranch_scc1 .LBB3_127
; %bb.10:
	v_bfe_u32 v4, v0, 10, 10
	v_and_b32_e32 v18, 0x3ff, v0
	v_lshlrev_b32_e32 v1, 4, v4
	v_add3_u32 v6, v1, v18, s54
	v_ashrrev_i32_e32 v7, 31, v6
	s_cmp_eq_u32 s50, 0
	v_lshlrev_b64 v[8:9], 2, v[6:7]
	s_cselect_b64 s[56:57], -1, 0
	s_cmp_gt_i32 s33, 0
	v_mov_b32_e32 v1, s27
	v_add_co_u32_e32 v8, vcc, s26, v8
	s_cselect_b64 s[58:59], -1, 0
	s_add_i32 s43, s51, 1
	v_addc_co_u32_e32 v9, vcc, v1, v9, vcc
	v_xad_u32 v1, v4, -1, s33
	s_cmp_lg_u32 s50, 0
	v_lshrrev_b32_e32 v5, 2, v1
	s_cselect_b64 s[6:7], -1, 0
	v_add_u32_e32 v10, 1, v5
	s_add_u32 s70, s24, 4
	s_mul_i32 s16, s33, s54
	v_lshlrev_b32_e32 v21, 2, v18
	v_cmp_lt_u32_e64 s[12:13], 3, v1
	v_and_b32_e32 v22, 0x7ffffffe, v10
	s_movk_i32 s51, 0x44
	s_addc_u32 s71, s25, 0
	v_add_u32_e32 v1, s16, v18
	v_lshl_add_u32 v23, v22, 2, v4
	v_add_u32_e32 v24, 0x440, v21
	s_add_u32 s72, s26, 0x100
	v_mad_u32_u24 v27, v4, s51, v21
	v_mul_lo_u32 v29, s33, v1
	v_mbcnt_lo_u32_b32 v1, -1, 0
	v_cmp_gt_i32_e64 s[0:1], s33, v18
	v_cmp_le_i32_e64 s[2:3], s33, v18
	v_cmp_gt_i32_e64 s[4:5], s33, v4
	v_cmp_eq_u32_e64 s[8:9], 0, v4
	v_add_u32_e32 v19, 1, v4
	v_cmp_gt_i32_e64 s[10:11], s35, v6
	v_add_u32_e32 v7, 5, v4
	v_sub_u32_e32 v20, -2, v4
	v_add_u32_e32 v5, 4, v4
	s_mov_b32 s49, s33
	v_cmp_ne_u32_e64 s[14:15], v10, v22
	v_mad_u32_u24 v25, v4, s51, v24
	s_addc_u32 s73, s27, 0
	v_mul_u32_u24_e32 v26, 0x44, v4
	v_add_u32_e32 v28, 0x440, v27
	s_mul_i32 s74, s33, s33
	s_lshl_b32 s75, s33, 4
	v_add_u32_e32 v30, 0x484, v27
	v_mad_u32_u24 v31, v4, s51, s51
	v_mov_b32_e32 v32, 0
	s_movk_i32 s76, 0x110
	v_mul_lo_u32 v33, v23, s51
	v_mbcnt_hi_u32_b32 v34, -1, v1
	s_branch .LBB3_13
.LBB3_11:                               ;   in Loop: Header=BB3_13 Depth=1
	s_mov_b64 s[46:47], -1
.LBB3_12:                               ;   in Loop: Header=BB3_13 Depth=1
	s_add_i32 s54, s54, 1
	s_cmp_lt_i32 s54, s48
	s_cselect_b64 s[16:17], -1, 0
	s_and_b64 s[16:17], s[24:25], s[16:17]
	v_add_u32_e32 v29, s74, v29
	s_and_b64 vcc, exec, s[16:17]
	s_cbranch_vccz .LBB3_127
.LBB3_13:                               ; =>This Loop Header: Depth=1
                                        ;     Child Loop BB3_16 Depth 2
                                        ;       Child Loop BB3_19 Depth 3
                                        ;       Child Loop BB3_26 Depth 3
                                        ;     Child Loop BB3_32 Depth 2
                                        ;     Child Loop BB3_36 Depth 2
                                        ;       Child Loop BB3_39 Depth 3
                                        ;       Child Loop BB3_46 Depth 3
                                        ;     Child Loop BB3_53 Depth 2
                                        ;       Child Loop BB3_56 Depth 3
                                        ;         Child Loop BB3_61 Depth 4
                                        ;         Child Loop BB3_65 Depth 4
                                        ;     Child Loop BB3_69 Depth 2
                                        ;       Child Loop BB3_72 Depth 3
                                        ;       Child Loop BB3_79 Depth 3
                                        ;     Child Loop BB3_88 Depth 2
                                        ;       Child Loop BB3_93 Depth 3
                                        ;       Child Loop BB3_102 Depth 3
                                        ;         Child Loop BB3_105 Depth 4
                                        ;         Child Loop BB3_112 Depth 4
                                        ;       Child Loop BB3_118 Depth 3
                                        ;         Child Loop BB3_121 Depth 4
                                        ;           Child Loop BB3_122 Depth 5
	s_ashr_i32 s55, s54, 31
	s_lshl_b64 s[16:17], s[54:55], 2
	s_add_u32 s16, s26, s16
	s_addc_u32 s17, s27, s17
	global_load_dword v1, v32, s[16:17]
	s_waitcnt vmcnt(0)
	v_readfirstlane_b32 s55, v1
	s_and_saveexec_b64 s[16:17], s[0:1]
	s_cbranch_execz .LBB3_30
; %bb.14:                               ;   in Loop: Header=BB3_13 Depth=1
	s_mul_i32 s62, s54, s33
	s_mov_b32 s63, s62
	s_mov_b64 s[18:19], 0
	v_mov_b32_e32 v35, v24
	v_mov_b32_e32 v36, v29
	;; [unrolled: 1-line block ×4, first 2 shown]
	s_branch .LBB3_16
.LBB3_15:                               ;   in Loop: Header=BB3_16 Depth=2
	s_or_b64 exec, exec, s[20:21]
	v_add_u32_e32 v10, 16, v10
	v_cmp_le_i32_e32 vcc, s33, v10
	v_add_u32_e32 v37, 64, v37
	v_add_u32_e32 v36, s75, v36
	s_or_b64 s[18:19], vcc, s[18:19]
	v_add_u32_e32 v35, 64, v35
	s_andn2_b64 exec, exec, s[18:19]
	s_cbranch_execz .LBB3_30
.LBB3_16:                               ;   Parent Loop BB3_13 Depth=1
                                        ; =>  This Loop Header: Depth=2
                                        ;       Child Loop BB3_19 Depth 3
                                        ;       Child Loop BB3_26 Depth 3
	s_and_saveexec_b64 s[20:21], s[4:5]
	s_cbranch_execz .LBB3_15
; %bb.17:                               ;   in Loop: Header=BB3_16 Depth=2
	s_mov_b64 s[24:25], -1
	v_mov_b32_e32 v1, v4
	v_mov_b32_e32 v11, v26
	s_and_saveexec_b64 s[22:23], s[12:13]
	s_cbranch_execz .LBB3_23
; %bb.18:                               ;   in Loop: Header=BB3_16 Depth=2
	v_add_u32_e32 v1, s62, v10
	v_mul_lo_u32 v12, v1, s33
	v_mov_b32_e32 v11, v10
	v_mov_b32_e32 v1, v12
	s_mov_b64 s[24:25], 0
	v_mov_b32_e32 v13, v22
	v_mov_b32_e32 v38, v37
	v_pk_mov_b32 v[14:15], v[4:5], v[4:5] op_sel:[0,1]
.LBB3_19:                               ;   Parent Loop BB3_13 Depth=1
                                        ;     Parent Loop BB3_16 Depth=2
                                        ; =>    This Inner Loop Header: Depth=3
	v_add_u32_e32 v39, s62, v14
	v_add_u32_e32 v45, v14, v12
	v_mad_u64_u32 v[42:43], s[60:61], v39, s33, v[10:11]
	v_add_u32_e32 v41, s63, v15
	v_mov_b32_e32 v40, v11
	v_cndmask_b32_e64 v42, v45, v42, s[6:7]
	v_add_u32_e32 v44, v15, v1
	v_mad_u64_u32 v[40:41], s[60:61], v41, s49, v[40:41]
	v_ashrrev_i32_e32 v43, 31, v42
	v_cndmask_b32_e64 v40, v44, v40, s[6:7]
	v_lshlrev_b64 v[42:43], 2, v[42:43]
	v_mov_b32_e32 v46, s29
	v_ashrrev_i32_e32 v41, 31, v40
	v_add_co_u32_e32 v42, vcc, s28, v42
	v_lshlrev_b64 v[40:41], 2, v[40:41]
	v_addc_co_u32_e32 v43, vcc, v46, v43, vcc
	v_mov_b32_e32 v47, s29
	v_add_co_u32_e32 v40, vcc, s28, v40
	v_addc_co_u32_e32 v41, vcc, v47, v41, vcc
	global_load_dword v39, v[42:43], off
	s_nop 0
	global_load_dword v40, v[40:41], off
	v_add_u32_e32 v13, -2, v13
	v_cmp_eq_u32_e32 vcc, 0, v13
	v_add_u32_e32 v15, 8, v15
	v_add_u32_e32 v14, 8, v14
	s_or_b64 s[24:25], vcc, s[24:25]
	s_waitcnt vmcnt(0)
	ds_write2_b32 v38, v39, v40 offset1:68
	v_add_u32_e32 v38, 0x220, v38
	s_andn2_b64 exec, exec, s[24:25]
	s_cbranch_execnz .LBB3_19
; %bb.20:                               ;   in Loop: Header=BB3_16 Depth=2
	s_or_b64 exec, exec, s[24:25]
	s_mov_b64 s[24:25], 0
	s_and_saveexec_b64 s[60:61], s[14:15]
	s_xor_b64 s[60:61], exec, s[60:61]
; %bb.21:                               ;   in Loop: Header=BB3_16 Depth=2
	s_mov_b64 s[24:25], exec
; %bb.22:                               ;   in Loop: Header=BB3_16 Depth=2
	s_or_b64 exec, exec, s[60:61]
	s_orn2_b64 s[24:25], s[24:25], exec
	v_mov_b32_e32 v1, v23
	v_mov_b32_e32 v11, v33
.LBB3_23:                               ;   in Loop: Header=BB3_16 Depth=2
	s_or_b64 exec, exec, s[22:23]
	s_and_b64 exec, exec, s[24:25]
	s_cbranch_execz .LBB3_15
; %bb.24:                               ;   in Loop: Header=BB3_16 Depth=2
	v_add_u32_e32 v11, v35, v11
	s_mov_b64 s[22:23], 0
	s_branch .LBB3_26
.LBB3_25:                               ;   in Loop: Header=BB3_26 Depth=3
	v_ashrrev_i32_e32 v13, 31, v12
	v_lshlrev_b64 v[12:13], 2, v[12:13]
	v_mov_b32_e32 v14, s29
	v_add_co_u32_e32 v12, vcc, s28, v12
	v_addc_co_u32_e32 v13, vcc, v14, v13, vcc
	global_load_dword v12, v[12:13], off
	v_add_u32_e32 v1, 4, v1
	v_cmp_le_i32_e32 vcc, s33, v1
	s_or_b64 s[22:23], vcc, s[22:23]
	s_waitcnt vmcnt(0)
	ds_write_b32 v11, v12
	v_add_u32_e32 v11, 0x110, v11
	s_andn2_b64 exec, exec, s[22:23]
	s_cbranch_execz .LBB3_15
.LBB3_26:                               ;   Parent Loop BB3_13 Depth=1
                                        ;     Parent Loop BB3_16 Depth=2
                                        ; =>    This Inner Loop Header: Depth=3
	s_andn2_b64 vcc, exec, s[56:57]
	s_cbranch_vccnz .LBB3_28
; %bb.27:                               ;   in Loop: Header=BB3_26 Depth=3
	v_add_u32_e32 v12, v36, v1
	s_cbranch_execnz .LBB3_25
	s_branch .LBB3_29
.LBB3_28:                               ;   in Loop: Header=BB3_26 Depth=3
                                        ; implicit-def: $vgpr12
.LBB3_29:                               ;   in Loop: Header=BB3_26 Depth=3
	v_add_u32_e32 v12, s62, v1
	v_mad_u64_u32 v[12:13], s[24:25], v12, s33, v[10:11]
	s_branch .LBB3_25
.LBB3_30:                               ;   in Loop: Header=BB3_13 Depth=1
	s_or_b64 exec, exec, s[16:17]
	s_sub_i32 s16, s55, s34
	s_ashr_i32 s17, s16, 31
	s_lshl_b64 s[16:17], s[16:17], 2
	s_add_u32 s18, s30, s16
	s_addc_u32 s19, s31, s17
	global_load_dword v1, v32, s[18:19]
	s_waitcnt vmcnt(0)
	v_readfirstlane_b32 s55, v1
	v_cmp_eq_u32_e32 vcc, -1, v1
	s_cmp_lg_u32 s55, -1
	s_cselect_b64 s[24:25], -1, 0
	s_cbranch_vccnz .LBB3_11
; %bb.31:                               ;   in Loop: Header=BB3_13 Depth=1
	s_add_u32 s18, s70, s16
	s_addc_u32 s19, s71, s17
	global_load_dword v1, v32, s[18:19]
	s_add_u32 s16, s40, s16
	s_addc_u32 s17, s41, s17
	s_waitcnt vmcnt(0)
	v_readfirstlane_b32 s77, v1
.LBB3_32:                               ;   Parent Loop BB3_13 Depth=1
                                        ; =>  This Inner Loop Header: Depth=2
	global_load_dword v1, v32, s[16:17] glc
	s_waitcnt vmcnt(0)
	v_cmp_eq_u32_e32 vcc, 0, v1
	s_cbranch_vccnz .LBB3_32
; %bb.33:                               ;   in Loop: Header=BB3_13 Depth=1
	s_waitcnt lgkmcnt(0)
	buffer_wbinvl1_vol
	s_and_saveexec_b64 s[16:17], s[0:1]
	s_cbranch_execz .LBB3_50
; %bb.34:                               ;   in Loop: Header=BB3_13 Depth=1
	s_mul_i32 s64, s55, s33
	v_add_u32_e32 v1, s64, v18
	s_mov_b32 s65, s64
	v_mul_lo_u32 v35, s33, v1
	s_mov_b64 s[18:19], 0
	v_mov_b32_e32 v36, v21
	v_mov_b32_e32 v37, v27
	;; [unrolled: 1-line block ×3, first 2 shown]
	s_branch .LBB3_36
.LBB3_35:                               ;   in Loop: Header=BB3_36 Depth=2
	s_or_b64 exec, exec, s[20:21]
	v_add_u32_e32 v10, 16, v10
	v_cmp_le_i32_e32 vcc, s33, v10
	v_add_u32_e32 v37, 64, v37
	v_add_u32_e32 v35, s75, v35
	s_or_b64 s[18:19], vcc, s[18:19]
	v_add_u32_e32 v36, 64, v36
	s_andn2_b64 exec, exec, s[18:19]
	s_cbranch_execz .LBB3_50
.LBB3_36:                               ;   Parent Loop BB3_13 Depth=1
                                        ; =>  This Loop Header: Depth=2
                                        ;       Child Loop BB3_39 Depth 3
                                        ;       Child Loop BB3_46 Depth 3
	s_and_saveexec_b64 s[20:21], s[4:5]
	s_cbranch_execz .LBB3_35
; %bb.37:                               ;   in Loop: Header=BB3_36 Depth=2
	s_mov_b64 s[60:61], -1
	v_mov_b32_e32 v1, v4
	v_mov_b32_e32 v11, v26
	s_and_saveexec_b64 s[22:23], s[12:13]
	s_cbranch_execz .LBB3_43
; %bb.38:                               ;   in Loop: Header=BB3_36 Depth=2
	v_add_u32_e32 v1, s64, v10
	v_mul_lo_u32 v12, v1, s33
	v_mov_b32_e32 v11, v10
	v_mov_b32_e32 v1, v12
	s_mov_b64 s[60:61], 0
	v_mov_b32_e32 v13, v22
	v_mov_b32_e32 v38, v37
	v_pk_mov_b32 v[14:15], v[4:5], v[4:5] op_sel:[0,1]
.LBB3_39:                               ;   Parent Loop BB3_13 Depth=1
                                        ;     Parent Loop BB3_36 Depth=2
                                        ; =>    This Inner Loop Header: Depth=3
	v_add_u32_e32 v39, s64, v14
	v_add_u32_e32 v45, v14, v12
	v_mad_u64_u32 v[42:43], s[62:63], v39, s33, v[10:11]
	v_add_u32_e32 v41, s65, v15
	v_mov_b32_e32 v40, v11
	v_cndmask_b32_e64 v42, v45, v42, s[6:7]
	v_add_u32_e32 v44, v15, v1
	v_mad_u64_u32 v[40:41], s[62:63], v41, s49, v[40:41]
	v_ashrrev_i32_e32 v43, 31, v42
	v_cndmask_b32_e64 v40, v44, v40, s[6:7]
	v_lshlrev_b64 v[42:43], 2, v[42:43]
	v_mov_b32_e32 v46, s29
	v_ashrrev_i32_e32 v41, 31, v40
	v_add_co_u32_e32 v42, vcc, s28, v42
	v_lshlrev_b64 v[40:41], 2, v[40:41]
	v_addc_co_u32_e32 v43, vcc, v46, v43, vcc
	v_mov_b32_e32 v47, s29
	v_add_co_u32_e32 v40, vcc, s28, v40
	v_addc_co_u32_e32 v41, vcc, v47, v41, vcc
	global_load_dword v39, v[42:43], off
	s_nop 0
	global_load_dword v40, v[40:41], off
	v_add_u32_e32 v13, -2, v13
	v_cmp_eq_u32_e32 vcc, 0, v13
	v_add_u32_e32 v15, 8, v15
	v_add_u32_e32 v14, 8, v14
	s_or_b64 s[60:61], vcc, s[60:61]
	s_waitcnt vmcnt(0)
	ds_write2_b32 v38, v39, v40 offset1:68
	v_add_u32_e32 v38, 0x220, v38
	s_andn2_b64 exec, exec, s[60:61]
	s_cbranch_execnz .LBB3_39
; %bb.40:                               ;   in Loop: Header=BB3_36 Depth=2
	s_or_b64 exec, exec, s[60:61]
	s_mov_b64 s[60:61], 0
                                        ; implicit-def: $vgpr11
	s_and_saveexec_b64 s[62:63], s[14:15]
	s_xor_b64 s[62:63], exec, s[62:63]
; %bb.41:                               ;   in Loop: Header=BB3_36 Depth=2
	s_mov_b64 s[60:61], exec
	v_mul_lo_u32 v11, v23, s51
; %bb.42:                               ;   in Loop: Header=BB3_36 Depth=2
	s_or_b64 exec, exec, s[62:63]
	s_orn2_b64 s[60:61], s[60:61], exec
	v_mov_b32_e32 v1, v23
.LBB3_43:                               ;   in Loop: Header=BB3_36 Depth=2
	s_or_b64 exec, exec, s[22:23]
	s_and_b64 exec, exec, s[60:61]
	s_cbranch_execz .LBB3_35
; %bb.44:                               ;   in Loop: Header=BB3_36 Depth=2
	v_add_u32_e32 v11, v36, v11
	s_mov_b64 s[22:23], 0
	s_branch .LBB3_46
.LBB3_45:                               ;   in Loop: Header=BB3_46 Depth=3
	v_ashrrev_i32_e32 v13, 31, v12
	v_lshlrev_b64 v[12:13], 2, v[12:13]
	v_mov_b32_e32 v14, s29
	v_add_co_u32_e32 v12, vcc, s28, v12
	v_addc_co_u32_e32 v13, vcc, v14, v13, vcc
	global_load_dword v12, v[12:13], off
	v_add_u32_e32 v1, 4, v1
	v_cmp_le_i32_e32 vcc, s33, v1
	s_or_b64 s[22:23], vcc, s[22:23]
	s_waitcnt vmcnt(0)
	ds_write_b32 v11, v12
	v_add_u32_e32 v11, 0x110, v11
	s_andn2_b64 exec, exec, s[22:23]
	s_cbranch_execz .LBB3_35
.LBB3_46:                               ;   Parent Loop BB3_13 Depth=1
                                        ;     Parent Loop BB3_36 Depth=2
                                        ; =>    This Inner Loop Header: Depth=3
	s_andn2_b64 vcc, exec, s[56:57]
	s_cbranch_vccnz .LBB3_48
; %bb.47:                               ;   in Loop: Header=BB3_46 Depth=3
	v_add_u32_e32 v12, v35, v1
	s_cbranch_execnz .LBB3_45
	s_branch .LBB3_49
.LBB3_48:                               ;   in Loop: Header=BB3_46 Depth=3
                                        ; implicit-def: $vgpr12
.LBB3_49:                               ;   in Loop: Header=BB3_46 Depth=3
	v_add_u32_e32 v12, s64, v1
	v_mad_u64_u32 v[12:13], s[60:61], v12, s33, v[10:11]
	s_branch .LBB3_45
.LBB3_50:                               ;   in Loop: Header=BB3_13 Depth=1
	s_or_b64 exec, exec, s[16:17]
	s_andn2_b64 vcc, exec, s[58:59]
	s_waitcnt lgkmcnt(0)
	s_cbranch_vccnz .LBB3_66
; %bb.51:                               ;   in Loop: Header=BB3_13 Depth=1
	s_mov_b32 s78, 0
	s_mov_b32 s79, 0
	v_mov_b32_e32 v1, v20
	v_mov_b32_e32 v12, v7
	;; [unrolled: 1-line block ×4, first 2 shown]
	s_branch .LBB3_53
.LBB3_52:                               ;   in Loop: Header=BB3_53 Depth=2
	s_or_b64 exec, exec, s[60:61]
	s_add_i32 s79, s79, 1
	s_add_i32 s78, s78, 4
	v_add_u32_e32 v14, 0x44, v14
	v_add_u32_e32 v13, 0x48, v13
	;; [unrolled: 1-line block ×3, first 2 shown]
	s_cmp_eq_u32 s79, s33
	v_add_u32_e32 v1, -1, v1
	s_waitcnt lgkmcnt(0)
	s_cbranch_scc1 .LBB3_66
.LBB3_53:                               ;   Parent Loop BB3_13 Depth=1
                                        ; =>  This Loop Header: Depth=2
                                        ;       Child Loop BB3_56 Depth 3
                                        ;         Child Loop BB3_61 Depth 4
                                        ;         Child Loop BB3_65 Depth 4
	s_and_saveexec_b64 s[60:61], s[0:1]
	s_cbranch_execz .LBB3_52
; %bb.54:                               ;   in Loop: Header=BB3_53 Depth=2
	v_max_i32_e32 v10, s33, v12
	v_add_u32_e32 v10, v10, v1
	v_lshrrev_b32_e32 v10, 2, v10
	v_add_u32_e32 v10, 1, v10
	s_mul_i32 s80, s79, 0x44
	s_lshl_b32 s16, s79, 2
	v_and_b32_e32 v15, 0x7ffffffe, v10
	v_add_u32_e32 v10, s79, v7
	s_add_i32 s16, s80, s16
	v_max_i32_e32 v10, s33, v10
	v_subrev_u32_e32 v11, s79, v20
	v_mov_b32_e32 v35, s16
	v_add_u32_e32 v10, v10, v11
	ds_read_b32 v35, v35
	v_lshrrev_b32_e32 v11, 2, v10
	v_add_u32_e32 v40, 1, v11
	v_cmp_gt_u32_e64 s[18:19], s51, v10
	v_mul_hi_u32 v10, v11, s76
	v_add_u32_e32 v36, s79, v19
	v_cmp_ne_u32_e64 s[20:21], 0, v10
	v_and_b32_e32 v10, 0x7ffffffe, v40
	v_cmp_gt_i32_e64 s[16:17], s33, v36
	v_add_u32_e32 v37, s80, v25
	v_mul_lo_u32 v38, v11, s76
	s_mov_b32 s81, 0
	v_lshl_add_u32 v39, v10, 2, v36
	v_cmp_ne_u32_e64 s[22:23], v40, v10
	s_mov_b64 s[62:63], 0
	v_mov_b32_e32 v40, v24
	v_mov_b32_e32 v41, v14
	;; [unrolled: 1-line block ×3, first 2 shown]
	s_branch .LBB3_56
.LBB3_55:                               ;   in Loop: Header=BB3_56 Depth=3
	s_or_b64 exec, exec, s[64:65]
	v_add_u32_e32 v42, 16, v42
	s_add_i32 s81, s81, 1
	v_cmp_le_i32_e32 vcc, s33, v42
	v_add_u32_e32 v41, 64, v41
	s_or_b64 s[62:63], vcc, s[62:63]
	v_add_u32_e32 v40, 64, v40
	s_andn2_b64 exec, exec, s[62:63]
	s_cbranch_execz .LBB3_52
.LBB3_56:                               ;   Parent Loop BB3_13 Depth=1
                                        ;     Parent Loop BB3_53 Depth=2
                                        ; =>    This Loop Header: Depth=3
                                        ;         Child Loop BB3_61 Depth 4
                                        ;         Child Loop BB3_65 Depth 4
	v_lshl_add_u32 v10, v42, 2, s80
	ds_read_b32 v11, v10 offset:1088
	s_waitcnt lgkmcnt(0)
	v_div_scale_f32 v43, s[64:65], v35, v35, v11
	v_rcp_f32_e32 v44, v43
	v_div_scale_f32 v45, vcc, v11, v35, v11
	v_fma_f32 v46, -v43, v44, 1.0
	v_fmac_f32_e32 v44, v46, v44
	v_mul_f32_e32 v46, v45, v44
	v_fma_f32 v47, -v43, v46, v45
	v_fmac_f32_e32 v46, v47, v44
	v_fma_f32 v43, -v43, v46, v45
	v_div_fmas_f32 v43, v43, v44, v46
	v_div_fixup_f32 v43, v43, v35, v11
	s_and_saveexec_b64 s[64:65], s[8:9]
	s_cbranch_execz .LBB3_58
; %bb.57:                               ;   in Loop: Header=BB3_56 Depth=3
	v_add_u32_e32 v10, 0x440, v10
	ds_write_b32 v10, v43
.LBB3_58:                               ;   in Loop: Header=BB3_56 Depth=3
	s_or_b64 exec, exec, s[64:65]
	s_and_saveexec_b64 s[64:65], s[16:17]
	s_cbranch_execz .LBB3_55
; %bb.59:                               ;   in Loop: Header=BB3_56 Depth=3
	v_lshl_add_u32 v10, s81, 6, v37
	v_add_u32_e32 v10, 0x44, v10
	v_add_u32_e32 v11, v10, v38
	v_cmp_lt_u32_e32 vcc, v11, v10
	s_or_b64 s[66:67], vcc, s[20:21]
	s_or_b64 s[66:67], s[18:19], s[66:67]
	s_mov_b64 s[68:69], -1
	s_xor_b64 s[82:83], s[66:67], -1
	v_mov_b32_e32 v10, v36
	s_and_saveexec_b64 s[66:67], s[82:83]
	s_cbranch_execz .LBB3_63
; %bb.60:                               ;   in Loop: Header=BB3_56 Depth=3
	v_xor_b32_e32 v10, 0x80000000, v43
	v_mov_b32_e32 v11, v10
	s_mov_b64 s[68:69], 0
	v_mov_b32_e32 v44, v15
	v_mov_b32_e32 v45, v13
	;; [unrolled: 1-line block ×3, first 2 shown]
.LBB3_61:                               ;   Parent Loop BB3_13 Depth=1
                                        ;     Parent Loop BB3_53 Depth=2
                                        ;       Parent Loop BB3_56 Depth=3
                                        ; =>      This Inner Loop Header: Depth=4
	ds_read2_b32 v[48:49], v45 offset1:68
	ds_read2_b32 v[50:51], v46 offset1:68
	v_add_u32_e32 v44, -2, v44
	v_cmp_eq_u32_e32 vcc, 0, v44
	s_or_b64 s[68:69], vcc, s[68:69]
	v_add_u32_e32 v45, 0x220, v45
	s_waitcnt lgkmcnt(0)
	v_pk_fma_f32 v[48:49], v[10:11], v[48:49], v[50:51]
	ds_write2_b32 v46, v48, v49 offset1:68
	v_add_u32_e32 v46, 0x220, v46
	s_andn2_b64 exec, exec, s[68:69]
	s_cbranch_execnz .LBB3_61
; %bb.62:                               ;   in Loop: Header=BB3_56 Depth=3
	s_or_b64 exec, exec, s[68:69]
	s_orn2_b64 s[68:69], s[22:23], exec
	v_mov_b32_e32 v10, v39
.LBB3_63:                               ;   in Loop: Header=BB3_56 Depth=3
	s_or_b64 exec, exec, s[66:67]
	s_and_b64 exec, exec, s[68:69]
	s_cbranch_execz .LBB3_55
; %bb.64:                               ;   in Loop: Header=BB3_56 Depth=3
	v_mul_lo_u32 v44, v10, s51
	v_add_u32_e32 v11, v40, v44
	v_add_u32_e32 v44, s78, v44
	s_mov_b64 s[66:67], 0
.LBB3_65:                               ;   Parent Loop BB3_13 Depth=1
                                        ;     Parent Loop BB3_53 Depth=2
                                        ;       Parent Loop BB3_56 Depth=3
                                        ; =>      This Inner Loop Header: Depth=4
	ds_read_b32 v45, v44
	ds_read_b32 v46, v11
	v_add_u32_e32 v10, 4, v10
	v_cmp_le_i32_e32 vcc, s33, v10
	s_or_b64 s[66:67], vcc, s[66:67]
	v_add_u32_e32 v44, 0x110, v44
	s_waitcnt lgkmcnt(0)
	v_fma_f32 v45, -v43, v45, v46
	ds_write_b32 v11, v45
	v_add_u32_e32 v11, 0x110, v11
	s_andn2_b64 exec, exec, s[66:67]
	s_cbranch_execnz .LBB3_65
	s_branch .LBB3_55
.LBB3_66:                               ;   in Loop: Header=BB3_13 Depth=1
	s_and_saveexec_b64 s[16:17], s[0:1]
	s_cbranch_execz .LBB3_83
; %bb.67:                               ;   in Loop: Header=BB3_13 Depth=1
	s_mul_i32 s64, s54, s33
	s_mov_b32 s65, s64
	s_mov_b64 s[18:19], 0
	v_mov_b32_e32 v35, v24
	v_mov_b32_e32 v36, v29
	;; [unrolled: 1-line block ×4, first 2 shown]
	s_branch .LBB3_69
.LBB3_68:                               ;   in Loop: Header=BB3_69 Depth=2
	s_or_b64 exec, exec, s[20:21]
	v_add_u32_e32 v10, 16, v10
	v_cmp_le_i32_e32 vcc, s33, v10
	v_add_u32_e32 v37, 64, v37
	v_add_u32_e32 v36, s75, v36
	s_or_b64 s[18:19], vcc, s[18:19]
	v_add_u32_e32 v35, 64, v35
	s_andn2_b64 exec, exec, s[18:19]
	s_cbranch_execz .LBB3_83
.LBB3_69:                               ;   Parent Loop BB3_13 Depth=1
                                        ; =>  This Loop Header: Depth=2
                                        ;       Child Loop BB3_72 Depth 3
                                        ;       Child Loop BB3_79 Depth 3
	s_and_saveexec_b64 s[20:21], s[4:5]
	s_cbranch_execz .LBB3_68
; %bb.70:                               ;   in Loop: Header=BB3_69 Depth=2
	s_mov_b64 s[60:61], -1
	v_mov_b32_e32 v1, v4
	v_mov_b32_e32 v11, v26
	s_and_saveexec_b64 s[22:23], s[12:13]
	s_cbranch_execz .LBB3_76
; %bb.71:                               ;   in Loop: Header=BB3_69 Depth=2
	v_add_u32_e32 v1, s64, v10
	v_mul_lo_u32 v12, v1, s33
	v_mov_b32_e32 v11, v10
	v_mov_b32_e32 v1, v12
	s_mov_b64 s[60:61], 0
	v_mov_b32_e32 v13, v22
	v_mov_b32_e32 v38, v37
	v_pk_mov_b32 v[14:15], v[4:5], v[4:5] op_sel:[0,1]
.LBB3_72:                               ;   Parent Loop BB3_13 Depth=1
                                        ;     Parent Loop BB3_69 Depth=2
                                        ; =>    This Inner Loop Header: Depth=3
	v_add_u32_e32 v39, s64, v14
	v_add_u32_e32 v47, v14, v12
	v_mad_u64_u32 v[44:45], s[62:63], v39, s33, v[10:11]
	v_add_u32_e32 v43, s65, v15
	v_mov_b32_e32 v42, v11
	v_cndmask_b32_e64 v44, v47, v44, s[6:7]
	ds_read2_b32 v[40:41], v38 offset1:68
	v_add_u32_e32 v46, v15, v1
	v_add_u32_e32 v13, -2, v13
	v_mad_u64_u32 v[42:43], s[62:63], v43, s49, v[42:43]
	v_ashrrev_i32_e32 v45, 31, v44
	v_cmp_eq_u32_e32 vcc, 0, v13
	v_cndmask_b32_e64 v42, v46, v42, s[6:7]
	v_lshlrev_b64 v[44:45], 2, v[44:45]
	v_mov_b32_e32 v48, s29
	s_or_b64 s[60:61], vcc, s[60:61]
	v_ashrrev_i32_e32 v43, 31, v42
	v_add_co_u32_e32 v44, vcc, s28, v44
	v_lshlrev_b64 v[42:43], 2, v[42:43]
	v_addc_co_u32_e32 v45, vcc, v48, v45, vcc
	v_mov_b32_e32 v49, s29
	v_add_u32_e32 v15, 8, v15
	v_add_u32_e32 v14, 8, v14
	;; [unrolled: 1-line block ×3, first 2 shown]
	v_add_co_u32_e32 v42, vcc, s28, v42
	v_addc_co_u32_e32 v43, vcc, v49, v43, vcc
	s_waitcnt lgkmcnt(0)
	global_store_dword v[44:45], v40, off
	global_store_dword v[42:43], v41, off
	s_andn2_b64 exec, exec, s[60:61]
	s_cbranch_execnz .LBB3_72
; %bb.73:                               ;   in Loop: Header=BB3_69 Depth=2
	s_or_b64 exec, exec, s[60:61]
	s_mov_b64 s[60:61], 0
                                        ; implicit-def: $vgpr11
	s_and_saveexec_b64 s[62:63], s[14:15]
	s_xor_b64 s[62:63], exec, s[62:63]
; %bb.74:                               ;   in Loop: Header=BB3_69 Depth=2
	s_mov_b64 s[60:61], exec
	v_mul_lo_u32 v11, v23, s51
; %bb.75:                               ;   in Loop: Header=BB3_69 Depth=2
	s_or_b64 exec, exec, s[62:63]
	s_orn2_b64 s[60:61], s[60:61], exec
	v_mov_b32_e32 v1, v23
.LBB3_76:                               ;   in Loop: Header=BB3_69 Depth=2
	s_or_b64 exec, exec, s[22:23]
	s_and_b64 exec, exec, s[60:61]
	s_cbranch_execz .LBB3_68
; %bb.77:                               ;   in Loop: Header=BB3_69 Depth=2
	v_add_u32_e32 v11, v35, v11
	s_mov_b64 s[22:23], 0
	s_branch .LBB3_79
.LBB3_78:                               ;   in Loop: Header=BB3_79 Depth=3
	v_ashrrev_i32_e32 v13, 31, v12
	v_lshlrev_b64 v[12:13], 2, v[12:13]
	v_mov_b32_e32 v15, s29
	v_add_co_u32_e32 v12, vcc, s28, v12
	v_addc_co_u32_e32 v13, vcc, v15, v13, vcc
	v_add_u32_e32 v1, 4, v1
	v_cmp_le_i32_e32 vcc, s33, v1
	s_or_b64 s[22:23], vcc, s[22:23]
	v_add_u32_e32 v11, 0x110, v11
	s_waitcnt lgkmcnt(0)
	global_store_dword v[12:13], v14, off
	s_andn2_b64 exec, exec, s[22:23]
	s_cbranch_execz .LBB3_68
.LBB3_79:                               ;   Parent Loop BB3_13 Depth=1
                                        ;     Parent Loop BB3_69 Depth=2
                                        ; =>    This Inner Loop Header: Depth=3
	ds_read_b32 v14, v11
	s_andn2_b64 vcc, exec, s[56:57]
	s_cbranch_vccnz .LBB3_81
; %bb.80:                               ;   in Loop: Header=BB3_79 Depth=3
	v_add_u32_e32 v12, v36, v1
	s_cbranch_execnz .LBB3_78
	s_branch .LBB3_82
.LBB3_81:                               ;   in Loop: Header=BB3_79 Depth=3
                                        ; implicit-def: $vgpr12
.LBB3_82:                               ;   in Loop: Header=BB3_79 Depth=3
	v_add_u32_e32 v12, s64, v1
	v_mad_u64_u32 v[12:13], s[60:61], v12, s33, v[10:11]
	s_branch .LBB3_78
.LBB3_83:                               ;   in Loop: Header=BB3_13 Depth=1
	s_or_b64 exec, exec, s[16:17]
	s_sub_i32 s66, s77, s34
	s_add_i32 s16, s55, 1
	s_cmp_ge_i32 s16, s66
	s_cbranch_scc1 .LBB3_12
; %bb.84:                               ;   in Loop: Header=BB3_13 Depth=1
	s_mul_i32 s17, s33, s16
	v_add_u32_e32 v1, s17, v18
	v_mul_lo_u32 v35, s33, v1
	s_branch .LBB3_88
.LBB3_85:                               ;   in Loop: Header=BB3_88 Depth=2
	s_or_b64 exec, exec, s[20:21]
.LBB3_86:                               ;   in Loop: Header=BB3_88 Depth=2
	s_or_b64 exec, exec, s[18:19]
.LBB3_87:                               ;   in Loop: Header=BB3_88 Depth=2
	s_add_i32 s16, s16, 1
	s_cmp_lt_i32 s16, s66
	v_add_u32_e32 v35, s74, v35
	s_waitcnt lgkmcnt(0)
	s_cbranch_scc0 .LBB3_12
.LBB3_88:                               ;   Parent Loop BB3_13 Depth=1
                                        ; =>  This Loop Header: Depth=2
                                        ;       Child Loop BB3_93 Depth 3
                                        ;       Child Loop BB3_102 Depth 3
                                        ;         Child Loop BB3_105 Depth 4
                                        ;         Child Loop BB3_112 Depth 4
                                        ;       Child Loop BB3_118 Depth 3
                                        ;         Child Loop BB3_121 Depth 4
                                        ;           Child Loop BB3_122 Depth 5
	s_ashr_i32 s17, s16, 31
	s_lshl_b64 s[18:19], s[16:17], 2
	s_add_u32 s18, s26, s18
	s_addc_u32 s19, s27, s19
	global_load_dword v1, v32, s[18:19]
	v_mov_b32_e32 v11, s43
	s_and_saveexec_b64 s[18:19], s[10:11]
	s_cbranch_execz .LBB3_90
; %bb.89:                               ;   in Loop: Header=BB3_88 Depth=2
	global_load_dword v10, v[8:9], off
	s_waitcnt vmcnt(0)
	v_subrev_u32_e32 v11, s34, v10
.LBB3_90:                               ;   in Loop: Header=BB3_88 Depth=2
	s_or_b64 exec, exec, s[18:19]
	s_waitcnt vmcnt(0)
	v_subrev_u32_e32 v1, s34, v1
	v_cmp_lt_i32_e32 vcc, v11, v1
	v_mov_b32_e32 v12, v6
	s_and_saveexec_b64 s[18:19], vcc
	s_cbranch_execz .LBB3_96
; %bb.91:                               ;   in Loop: Header=BB3_88 Depth=2
	s_mov_b64 s[20:21], 0
	v_mov_b32_e32 v10, v6
	s_branch .LBB3_93
.LBB3_92:                               ;   in Loop: Header=BB3_93 Depth=3
	s_or_b64 exec, exec, s[22:23]
	v_cmp_ge_i32_e32 vcc, v11, v1
	s_or_b64 s[20:21], vcc, s[20:21]
	v_mov_b32_e32 v10, v12
	s_andn2_b64 exec, exec, s[20:21]
	s_cbranch_execz .LBB3_95
.LBB3_93:                               ;   Parent Loop BB3_13 Depth=1
                                        ;     Parent Loop BB3_88 Depth=2
                                        ; =>    This Inner Loop Header: Depth=3
	v_add_u32_e32 v12, 64, v10
	v_cmp_gt_i32_e32 vcc, s35, v12
	v_mov_b32_e32 v11, s43
	s_and_saveexec_b64 s[22:23], vcc
	s_cbranch_execz .LBB3_92
; %bb.94:                               ;   in Loop: Header=BB3_93 Depth=3
	v_ashrrev_i32_e32 v11, 31, v10
	v_lshlrev_b64 v[10:11], 2, v[10:11]
	v_mov_b32_e32 v13, s73
	v_add_co_u32_e32 v10, vcc, s72, v10
	v_addc_co_u32_e32 v11, vcc, v13, v11, vcc
	global_load_dword v10, v[10:11], off
	s_waitcnt vmcnt(0)
	v_subrev_u32_e32 v11, s34, v10
	s_branch .LBB3_92
.LBB3_95:                               ;   in Loop: Header=BB3_88 Depth=2
	s_or_b64 exec, exec, s[20:21]
.LBB3_96:                               ;   in Loop: Header=BB3_88 Depth=2
	s_or_b64 exec, exec, s[18:19]
	v_cmp_eq_u32_e32 vcc, v11, v1
	s_cbranch_vccz .LBB3_87
; %bb.97:                               ;   in Loop: Header=BB3_88 Depth=2
	s_ff1_i32_b64 s17, vcc
	v_and_or_b32 v1, v34, 64, s17
	v_lshlrev_b32_e32 v1, 2, v1
	ds_bpermute_b32 v36, v1, v12
	s_and_saveexec_b64 s[18:19], s[2:3]
	s_xor_b64 s[18:19], exec, s[18:19]
	s_cbranch_execz .LBB3_99
; %bb.98:                               ;   in Loop: Header=BB3_88 Depth=2
	s_waitcnt lgkmcnt(0)
                                        ; implicit-def: $vgpr36
.LBB3_99:                               ;   in Loop: Header=BB3_88 Depth=2
	s_andn2_saveexec_b64 s[18:19], s[18:19]
	s_cbranch_execz .LBB3_86
; %bb.100:                              ;   in Loop: Header=BB3_88 Depth=2
	s_mul_i32 s17, s16, s33
	s_mov_b32 s55, s17
	s_mov_b64 s[20:21], 0
	v_mov_b32_e32 v37, v21
	v_mov_b32_e32 v38, v35
	;; [unrolled: 1-line block ×4, first 2 shown]
	s_branch .LBB3_102
.LBB3_101:                              ;   in Loop: Header=BB3_102 Depth=3
	s_or_b64 exec, exec, s[22:23]
	v_add_u32_e32 v10, 16, v10
	v_cmp_le_i32_e32 vcc, s33, v10
	v_add_u32_e32 v39, 64, v39
	v_add_u32_e32 v38, s75, v38
	s_or_b64 s[20:21], vcc, s[20:21]
	v_add_u32_e32 v37, 64, v37
	s_andn2_b64 exec, exec, s[20:21]
	s_cbranch_execz .LBB3_116
.LBB3_102:                              ;   Parent Loop BB3_13 Depth=1
                                        ;     Parent Loop BB3_88 Depth=2
                                        ; =>    This Loop Header: Depth=3
                                        ;         Child Loop BB3_105 Depth 4
                                        ;         Child Loop BB3_112 Depth 4
	s_and_saveexec_b64 s[22:23], s[4:5]
	s_cbranch_execz .LBB3_101
; %bb.103:                              ;   in Loop: Header=BB3_102 Depth=3
	s_mov_b64 s[62:63], -1
	v_mov_b32_e32 v1, v4
	v_mov_b32_e32 v11, v26
	s_and_saveexec_b64 s[60:61], s[12:13]
	s_cbranch_execz .LBB3_109
; %bb.104:                              ;   in Loop: Header=BB3_102 Depth=3
	v_add_u32_e32 v1, s17, v10
	v_mul_lo_u32 v12, v1, s33
	v_mov_b32_e32 v11, v10
	v_mov_b32_e32 v1, v12
	s_mov_b64 s[62:63], 0
	v_mov_b32_e32 v13, v22
	v_mov_b32_e32 v40, v39
	v_pk_mov_b32 v[14:15], v[4:5], v[4:5] op_sel:[0,1]
.LBB3_105:                              ;   Parent Loop BB3_13 Depth=1
                                        ;     Parent Loop BB3_88 Depth=2
                                        ;       Parent Loop BB3_102 Depth=3
                                        ; =>      This Inner Loop Header: Depth=4
	v_add_u32_e32 v41, s17, v14
	v_add_u32_e32 v47, v14, v12
	v_mad_u64_u32 v[44:45], s[64:65], v41, s33, v[10:11]
	v_add_u32_e32 v43, s55, v15
	v_mov_b32_e32 v42, v11
	v_cndmask_b32_e64 v44, v47, v44, s[6:7]
	v_add_u32_e32 v46, v15, v1
	v_mad_u64_u32 v[42:43], s[64:65], v43, s49, v[42:43]
	v_ashrrev_i32_e32 v45, 31, v44
	v_cndmask_b32_e64 v42, v46, v42, s[6:7]
	v_lshlrev_b64 v[44:45], 2, v[44:45]
	v_mov_b32_e32 v48, s29
	v_ashrrev_i32_e32 v43, 31, v42
	v_add_co_u32_e32 v44, vcc, s28, v44
	v_lshlrev_b64 v[42:43], 2, v[42:43]
	v_addc_co_u32_e32 v45, vcc, v48, v45, vcc
	v_mov_b32_e32 v49, s29
	v_add_co_u32_e32 v42, vcc, s28, v42
	v_addc_co_u32_e32 v43, vcc, v49, v43, vcc
	global_load_dword v41, v[44:45], off
	s_nop 0
	global_load_dword v42, v[42:43], off
	v_add_u32_e32 v13, -2, v13
	v_cmp_eq_u32_e32 vcc, 0, v13
	v_add_u32_e32 v15, 8, v15
	v_add_u32_e32 v14, 8, v14
	s_or_b64 s[62:63], vcc, s[62:63]
	s_waitcnt vmcnt(0)
	ds_write2_b32 v40, v41, v42 offset1:68
	v_add_u32_e32 v40, 0x220, v40
	s_andn2_b64 exec, exec, s[62:63]
	s_cbranch_execnz .LBB3_105
; %bb.106:                              ;   in Loop: Header=BB3_102 Depth=3
	s_or_b64 exec, exec, s[62:63]
	s_mov_b64 s[62:63], 0
                                        ; implicit-def: $vgpr11
	s_and_saveexec_b64 s[64:65], s[14:15]
	s_xor_b64 s[64:65], exec, s[64:65]
; %bb.107:                              ;   in Loop: Header=BB3_102 Depth=3
	s_mov_b64 s[62:63], exec
	v_mul_lo_u32 v11, v23, s51
; %bb.108:                              ;   in Loop: Header=BB3_102 Depth=3
	s_or_b64 exec, exec, s[64:65]
	s_orn2_b64 s[62:63], s[62:63], exec
	v_mov_b32_e32 v1, v23
.LBB3_109:                              ;   in Loop: Header=BB3_102 Depth=3
	s_or_b64 exec, exec, s[60:61]
	s_and_b64 exec, exec, s[62:63]
	s_cbranch_execz .LBB3_101
; %bb.110:                              ;   in Loop: Header=BB3_102 Depth=3
	v_add_u32_e32 v11, v37, v11
	s_mov_b64 s[60:61], 0
	s_branch .LBB3_112
.LBB3_111:                              ;   in Loop: Header=BB3_112 Depth=4
	v_ashrrev_i32_e32 v13, 31, v12
	v_lshlrev_b64 v[12:13], 2, v[12:13]
	v_mov_b32_e32 v14, s29
	v_add_co_u32_e32 v12, vcc, s28, v12
	v_addc_co_u32_e32 v13, vcc, v14, v13, vcc
	global_load_dword v12, v[12:13], off
	v_add_u32_e32 v1, 4, v1
	v_cmp_le_i32_e32 vcc, s33, v1
	s_or_b64 s[60:61], vcc, s[60:61]
	s_waitcnt vmcnt(0)
	ds_write_b32 v11, v12
	v_add_u32_e32 v11, 0x110, v11
	s_andn2_b64 exec, exec, s[60:61]
	s_cbranch_execz .LBB3_101
.LBB3_112:                              ;   Parent Loop BB3_13 Depth=1
                                        ;     Parent Loop BB3_88 Depth=2
                                        ;       Parent Loop BB3_102 Depth=3
                                        ; =>      This Inner Loop Header: Depth=4
	s_andn2_b64 vcc, exec, s[56:57]
	s_cbranch_vccnz .LBB3_114
; %bb.113:                              ;   in Loop: Header=BB3_112 Depth=4
	v_add_u32_e32 v12, v38, v1
	s_cbranch_execnz .LBB3_111
	s_branch .LBB3_115
.LBB3_114:                              ;   in Loop: Header=BB3_112 Depth=4
                                        ; implicit-def: $vgpr12
.LBB3_115:                              ;   in Loop: Header=BB3_112 Depth=4
	v_add_u32_e32 v12, s17, v1
	v_mad_u64_u32 v[12:13], s[62:63], v12, s33, v[10:11]
	s_branch .LBB3_111
.LBB3_116:                              ;   in Loop: Header=BB3_88 Depth=2
	s_or_b64 exec, exec, s[20:21]
	s_waitcnt lgkmcnt(0)
	v_mul_lo_u32 v1, v36, s33
	s_mov_b64 s[20:21], 0
	v_mov_b32_e32 v11, v24
	v_mov_b32_e32 v10, v18
	s_branch .LBB3_118
.LBB3_117:                              ;   in Loop: Header=BB3_118 Depth=3
	s_or_b64 exec, exec, s[22:23]
	v_add_u32_e32 v10, 16, v10
	v_cmp_le_i32_e32 vcc, s33, v10
	s_or_b64 s[20:21], vcc, s[20:21]
	v_add_u32_e32 v11, 64, v11
	s_andn2_b64 exec, exec, s[20:21]
	s_cbranch_execz .LBB3_85
.LBB3_118:                              ;   Parent Loop BB3_13 Depth=1
                                        ;     Parent Loop BB3_88 Depth=2
                                        ; =>    This Loop Header: Depth=3
                                        ;         Child Loop BB3_121 Depth 4
                                        ;           Child Loop BB3_122 Depth 5
	s_and_saveexec_b64 s[22:23], s[4:5]
	s_cbranch_execz .LBB3_117
; %bb.119:                              ;   in Loop: Header=BB3_118 Depth=3
	v_add_u32_e32 v12, v10, v1
	v_mul_lo_u32 v14, v12, s33
	s_mov_b64 s[60:61], 0
	v_mov_b32_e32 v15, v26
	v_mov_b32_e32 v36, v4
	s_branch .LBB3_121
.LBB3_120:                              ;   in Loop: Header=BB3_121 Depth=4
	v_ashrrev_i32_e32 v13, 31, v12
	v_lshlrev_b64 v[12:13], 2, v[12:13]
	v_mov_b32_e32 v38, s29
	v_add_co_u32_e32 v12, vcc, s28, v12
	v_addc_co_u32_e32 v13, vcc, v38, v13, vcc
	global_load_dword v38, v[12:13], off
	v_add_u32_e32 v36, 4, v36
	v_cmp_le_i32_e32 vcc, s33, v36
	s_or_b64 s[60:61], vcc, s[60:61]
	v_add_u32_e32 v15, 0x110, v15
	s_waitcnt vmcnt(0)
	v_sub_f32_e32 v37, v38, v37
	global_store_dword v[12:13], v37, off
	s_andn2_b64 exec, exec, s[60:61]
	s_cbranch_execz .LBB3_117
.LBB3_121:                              ;   Parent Loop BB3_13 Depth=1
                                        ;     Parent Loop BB3_88 Depth=2
                                        ;       Parent Loop BB3_118 Depth=3
                                        ; =>      This Loop Header: Depth=4
                                        ;           Child Loop BB3_122 Depth 5
	v_mov_b32_e32 v37, 0
	v_mov_b32_e32 v12, v11
	v_mov_b32_e32 v13, v15
	s_mov_b32 s17, s33
.LBB3_122:                              ;   Parent Loop BB3_13 Depth=1
                                        ;     Parent Loop BB3_88 Depth=2
                                        ;       Parent Loop BB3_118 Depth=3
                                        ;         Parent Loop BB3_121 Depth=4
                                        ; =>        This Inner Loop Header: Depth=5
	ds_read_b32 v38, v12
	ds_read_b32 v39, v13
	s_add_i32 s17, s17, -1
	v_add_u32_e32 v13, 4, v13
	v_add_u32_e32 v12, 0x44, v12
	s_cmp_eq_u32 s17, 0
	s_waitcnt lgkmcnt(0)
	v_fmac_f32_e32 v37, v38, v39
	s_cbranch_scc0 .LBB3_122
; %bb.123:                              ;   in Loop: Header=BB3_121 Depth=4
	s_and_b64 vcc, exec, s[56:57]
	s_cbranch_vccz .LBB3_125
; %bb.124:                              ;   in Loop: Header=BB3_121 Depth=4
	v_add_u32_e32 v12, v36, v14
	s_cbranch_execnz .LBB3_120
	s_branch .LBB3_126
.LBB3_125:                              ;   in Loop: Header=BB3_121 Depth=4
                                        ; implicit-def: $vgpr12
.LBB3_126:                              ;   in Loop: Header=BB3_121 Depth=4
	v_add_u32_e32 v12, v36, v1
	v_mad_u64_u32 v[12:13], s[62:63], v12, s33, v[10:11]
	s_branch .LBB3_120
.LBB3_127:
	s_ashr_i32 s49, s48, 31
	s_lshl_b64 s[0:1], s[48:49], 2
	s_add_u32 s0, s26, s0
	s_addc_u32 s1, s27, s1
	v_mov_b32_e32 v1, 0
	global_load_dword v1, v1, s[0:1]
	s_waitcnt vmcnt(0)
	v_subrev_u32_e32 v1, s34, v1
	v_cmp_ne_u32_e32 vcc, s42, v1
	s_cbranch_vccnz .LBB3_196
; %bb.128:
	v_and_b32_e32 v4, 0x3ff, v0
	v_cmp_gt_i32_e64 s[0:1], s33, v4
	s_and_saveexec_b64 s[14:15], s[0:1]
	s_cbranch_execz .LBB3_151
; %bb.129:
	v_bfe_u32 v6, v0, 10, 10
	v_add_u32_e32 v7, 4, v6
	v_max_i32_e32 v1, s33, v7
	v_xad_u32 v1, v6, -1, v1
	v_lshrrev_b32_e32 v5, 2, v1
	v_add_u32_e32 v8, 1, v5
	v_add_u32_e32 v5, -1, v5
	v_lshrrev_b32_e32 v10, 1, v5
	v_and_b32_e32 v9, 0x7ffffffe, v8
	s_cmp_eq_u32 s50, 0
	s_mul_i32 s30, s48, s33
	v_add_u32_e32 v11, 1, v10
	v_cmp_ne_u32_e64 s[12:13], v8, v9
	v_add_u16_e32 v8, 1, v10
	s_cselect_b64 s[16:17], -1, 0
	s_cmp_lg_u32 s50, 0
	v_cmp_lt_u32_e64 s[6:7], 3, v1
	v_lshl_add_u32 v1, v9, 2, v6
	v_and_b32_e32 v12, 3, v11
	s_movk_i32 s49, 0x44
	v_lshlrev_b32_e32 v9, 2, v4
	v_and_b32_e32 v14, 3, v8
	v_add_u32_e32 v8, s30, v4
	v_cmp_gt_u32_e64 s[2:3], s33, v6
	s_cselect_b64 s[4:5], -1, 0
	s_mov_b32 s31, s30
	s_mov_b32 s43, s33
	v_cmp_lt_u32_e64 s[8:9], 5, v5
	v_cmp_ne_u32_e64 s[10:11], 0, v12
	v_mul_u32_u24_e32 v5, 0x44, v6
	v_mad_u32_u24 v12, v6, s49, v9
	v_and_b32_e32 v13, -4, v11
	v_mul_lo_u32 v15, s33, v8
	s_lshl_b32 s51, s33, 4
	s_mov_b64 s[18:19], 0
	s_movk_i32 s54, 0x110
	v_mov_b32_e32 v18, s29
	v_mov_b32_e32 v8, v4
	s_branch .LBB3_131
.LBB3_130:                              ;   in Loop: Header=BB3_131 Depth=1
	s_or_b64 exec, exec, s[20:21]
	v_add_u32_e32 v8, 16, v8
	v_cmp_le_i32_e32 vcc, s33, v8
	v_add_u32_e32 v12, 64, v12
	v_add_u32_e32 v15, s51, v15
	s_or_b64 s[18:19], vcc, s[18:19]
	v_add_u32_e32 v9, 64, v9
	s_andn2_b64 exec, exec, s[18:19]
	s_cbranch_execz .LBB3_151
.LBB3_131:                              ; =>This Loop Header: Depth=1
                                        ;     Child Loop BB3_135 Depth 2
                                        ;     Child Loop BB3_139 Depth 2
	;; [unrolled: 1-line block ×3, first 2 shown]
	s_and_saveexec_b64 s[20:21], s[2:3]
	s_cbranch_execz .LBB3_130
; %bb.132:                              ;   in Loop: Header=BB3_131 Depth=1
	s_mov_b64 s[24:25], -1
	v_mov_b32_e32 v19, v6
	v_mov_b32_e32 v10, v5
	s_and_saveexec_b64 s[22:23], s[6:7]
	s_cbranch_execz .LBB3_143
; %bb.133:                              ;   in Loop: Header=BB3_131 Depth=1
	v_add_u32_e32 v10, s30, v8
	v_mul_lo_u32 v19, v10, s33
	v_mov_b32_e32 v22, 0
	v_pk_mov_b32 v[10:11], v[6:7], v[6:7] op_sel:[0,1]
	s_and_saveexec_b64 s[24:25], s[8:9]
	s_cbranch_execz .LBB3_137
; %bb.134:                              ;   in Loop: Header=BB3_131 Depth=1
	s_mov_b32 s55, 0
	s_mov_b64 s[26:27], 0
	v_mov_b32_e32 v20, v13
	v_mov_b32_e32 v21, v12
	v_pk_mov_b32 v[10:11], v[6:7], v[6:7] op_sel:[0,1]
.LBB3_135:                              ;   Parent Loop BB3_131 Depth=1
                                        ; =>  This Inner Loop Header: Depth=2
	v_add_u32_e32 v24, s30, v10
	v_add_u32_e32 v22, s31, v11
	;; [unrolled: 1-line block ×4, first 2 shown]
	v_mad_u64_u32 v[24:25], s[56:57], v24, s33, v[8:9]
	v_add_u32_e32 v26, v11, v19
	v_mad_u64_u32 v[22:23], s[56:57], v22, s43, v[8:9]
	v_add_u32_e32 v25, s31, v28
	v_cndmask_b32_e64 v24, v27, v24, s[4:5]
	v_add_u32_e32 v29, 8, v10
	v_cndmask_b32_e64 v22, v26, v22, s[4:5]
	v_mad_u64_u32 v[26:27], s[56:57], v25, s43, v[8:9]
	v_ashrrev_i32_e32 v25, 31, v24
	v_add_u32_e32 v23, s30, v29
	v_lshlrev_b64 v[24:25], 2, v[24:25]
	v_add_u32_e32 v38, v28, v19
	v_add_u32_e32 v39, v29, v19
	v_mad_u64_u32 v[28:29], s[56:57], v23, s33, v[8:9]
	v_ashrrev_i32_e32 v23, 31, v22
	v_add_co_u32_e32 v24, vcc, s28, v24
	v_cndmask_b32_e64 v28, v39, v28, s[4:5]
	v_lshlrev_b64 v[22:23], 2, v[22:23]
	v_addc_co_u32_e32 v25, vcc, v18, v25, vcc
	v_add_u32_e32 v31, 16, v10
	v_ashrrev_i32_e32 v29, 31, v28
	v_add_co_u32_e32 v22, vcc, s28, v22
	v_add_u32_e32 v32, 24, v11
	v_add_u32_e32 v33, 24, v10
	;; [unrolled: 1-line block ×3, first 2 shown]
	v_cndmask_b32_e64 v26, v38, v26, s[4:5]
	v_addc_co_u32_e32 v23, vcc, v18, v23, vcc
	v_lshlrev_b64 v[28:29], 2, v[28:29]
	v_add_u32_e32 v30, 16, v11
	v_add_u32_e32 v41, v31, v19
	;; [unrolled: 1-line block ×6, first 2 shown]
	v_mad_u64_u32 v[32:33], s[56:57], v34, s33, v[8:9]
	v_ashrrev_i32_e32 v27, 31, v26
	v_add_co_u32_e32 v28, vcc, s28, v28
	v_add_u32_e32 v35, s31, v30
	v_cndmask_b32_e64 v32, v41, v32, s[4:5]
	v_lshlrev_b64 v[26:27], 2, v[26:27]
	v_addc_co_u32_e32 v29, vcc, v18, v29, vcc
	v_add_u32_e32 v40, v30, v19
	v_mad_u64_u32 v[30:31], s[56:57], v35, s43, v[8:9]
	v_ashrrev_i32_e32 v33, 31, v32
	v_add_co_u32_e32 v26, vcc, s28, v26
	v_cndmask_b32_e64 v30, v40, v30, s[4:5]
	v_lshlrev_b64 v[32:33], 2, v[32:33]
	v_addc_co_u32_e32 v27, vcc, v18, v27, vcc
	v_mad_u64_u32 v[34:35], s[56:57], v37, s43, v[8:9]
	v_mad_u64_u32 v[36:37], s[56:57], v36, s33, v[8:9]
	v_ashrrev_i32_e32 v31, 31, v30
	v_add_co_u32_e32 v32, vcc, s28, v32
	v_cndmask_b32_e64 v36, v43, v36, s[4:5]
	v_lshlrev_b64 v[30:31], 2, v[30:31]
	v_addc_co_u32_e32 v33, vcc, v18, v33, vcc
	v_ashrrev_i32_e32 v37, 31, v36
	v_add_co_u32_e32 v30, vcc, s28, v30
	v_cndmask_b32_e64 v34, v42, v34, s[4:5]
	v_lshlrev_b64 v[36:37], 2, v[36:37]
	v_addc_co_u32_e32 v31, vcc, v18, v31, vcc
	v_ashrrev_i32_e32 v35, 31, v34
	v_add_co_u32_e32 v36, vcc, s28, v36
	v_lshlrev_b64 v[34:35], 2, v[34:35]
	v_addc_co_u32_e32 v37, vcc, v18, v37, vcc
	v_add_co_u32_e32 v34, vcc, s28, v34
	v_addc_co_u32_e32 v35, vcc, v18, v35, vcc
	global_load_dword v24, v[24:25], off
	s_nop 0
	global_load_dword v23, v[22:23], off
	s_nop 0
	;; [unrolled: 2-line block ×4, first 2 shown]
	global_load_dword v27, v[32:33], off
	global_load_dword v28, v[30:31], off
	;; [unrolled: 1-line block ×3, first 2 shown]
	s_nop 0
	global_load_dword v30, v[34:35], off
	v_add_u32_e32 v20, -4, v20
	s_add_i32 s55, s55, 8
	v_cmp_eq_u32_e32 vcc, 0, v20
	v_add_u32_e32 v31, 0x400, v21
	v_add_u32_e32 v11, 32, v11
	;; [unrolled: 1-line block ×3, first 2 shown]
	v_mov_b32_e32 v22, s55
	s_or_b64 s[26:27], vcc, s[26:27]
	s_waitcnt vmcnt(6)
	ds_write2_b32 v21, v24, v23 offset1:68
	s_waitcnt vmcnt(4)
	ds_write2_b32 v21, v25, v26 offset0:136 offset1:204
	s_waitcnt vmcnt(2)
	ds_write2_b32 v31, v27, v28 offset0:16 offset1:84
	;; [unrolled: 2-line block ×3, first 2 shown]
	v_add_u32_e32 v21, 0x880, v21
	s_andn2_b64 exec, exec, s[26:27]
	s_cbranch_execnz .LBB3_135
; %bb.136:                              ;   in Loop: Header=BB3_131 Depth=1
	s_or_b64 exec, exec, s[26:27]
.LBB3_137:                              ;   in Loop: Header=BB3_131 Depth=1
	s_or_b64 exec, exec, s[24:25]
	s_and_saveexec_b64 s[24:25], s[10:11]
	s_cbranch_execz .LBB3_140
; %bb.138:                              ;   in Loop: Header=BB3_131 Depth=1
	v_mul_lo_u32 v20, v22, s54
	s_mov_b64 s[26:27], 0
	v_mov_b32_e32 v21, v14
.LBB3_139:                              ;   Parent Loop BB3_131 Depth=1
                                        ; =>  This Inner Loop Header: Depth=2
	v_add_u32_e32 v24, s30, v10
	v_add_u32_e32 v27, v10, v19
	v_mad_u64_u32 v[24:25], s[56:57], v24, s33, v[8:9]
	v_add_u32_e32 v22, s31, v11
	v_cndmask_b32_e64 v24, v27, v24, s[4:5]
	v_add_u32_e32 v26, v11, v19
	v_mad_u64_u32 v[22:23], s[56:57], v22, s43, v[8:9]
	v_ashrrev_i32_e32 v25, 31, v24
	v_cndmask_b32_e64 v22, v26, v22, s[4:5]
	v_lshlrev_b64 v[24:25], 2, v[24:25]
	v_mov_b32_e32 v28, s29
	v_ashrrev_i32_e32 v23, 31, v22
	v_add_co_u32_e32 v24, vcc, s28, v24
	v_lshlrev_b64 v[22:23], 2, v[22:23]
	v_addc_co_u32_e32 v25, vcc, v28, v25, vcc
	v_mov_b32_e32 v29, s29
	v_add_co_u32_e32 v22, vcc, s28, v22
	v_addc_co_u32_e32 v23, vcc, v29, v23, vcc
	global_load_dword v24, v[24:25], off
	s_nop 0
	global_load_dword v22, v[22:23], off
	v_add_u32_e32 v21, -1, v21
	v_cmp_eq_u32_e32 vcc, 0, v21
	v_add_u32_e32 v23, v12, v20
	v_add_u32_e32 v11, 8, v11
	;; [unrolled: 1-line block ×4, first 2 shown]
	s_or_b64 s[26:27], vcc, s[26:27]
	s_waitcnt vmcnt(0)
	ds_write2_b32 v23, v24, v22 offset1:68
	s_andn2_b64 exec, exec, s[26:27]
	s_cbranch_execnz .LBB3_139
.LBB3_140:                              ;   in Loop: Header=BB3_131 Depth=1
	s_or_b64 exec, exec, s[24:25]
	s_mov_b64 s[24:25], 0
                                        ; implicit-def: $vgpr10
	s_and_saveexec_b64 s[26:27], s[12:13]
	s_xor_b64 s[26:27], exec, s[26:27]
; %bb.141:                              ;   in Loop: Header=BB3_131 Depth=1
	s_mov_b64 s[24:25], exec
	v_mul_lo_u32 v10, v1, s49
; %bb.142:                              ;   in Loop: Header=BB3_131 Depth=1
	s_or_b64 exec, exec, s[26:27]
	s_orn2_b64 s[24:25], s[24:25], exec
	v_mov_b32_e32 v19, v1
.LBB3_143:                              ;   in Loop: Header=BB3_131 Depth=1
	s_or_b64 exec, exec, s[22:23]
	s_and_b64 exec, exec, s[24:25]
	s_cbranch_execz .LBB3_130
; %bb.144:                              ;   in Loop: Header=BB3_131 Depth=1
	v_add_u32_e32 v20, v9, v10
	s_mov_b64 s[22:23], 0
	s_branch .LBB3_146
.LBB3_145:                              ;   in Loop: Header=BB3_146 Depth=2
	v_ashrrev_i32_e32 v11, 31, v10
	v_lshlrev_b64 v[10:11], 2, v[10:11]
	v_mov_b32_e32 v21, s29
	v_add_co_u32_e32 v10, vcc, s28, v10
	v_addc_co_u32_e32 v11, vcc, v21, v11, vcc
	global_load_dword v10, v[10:11], off
	v_add_u32_e32 v19, 4, v19
	v_cmp_le_i32_e32 vcc, s33, v19
	s_or_b64 s[22:23], vcc, s[22:23]
	s_waitcnt vmcnt(0)
	ds_write_b32 v20, v10
	v_add_u32_e32 v20, 0x110, v20
	s_andn2_b64 exec, exec, s[22:23]
	s_cbranch_execz .LBB3_130
.LBB3_146:                              ;   Parent Loop BB3_131 Depth=1
                                        ; =>  This Inner Loop Header: Depth=2
	s_andn2_b64 vcc, exec, s[16:17]
	s_cbranch_vccnz .LBB3_148
; %bb.147:                              ;   in Loop: Header=BB3_146 Depth=2
	v_add_u32_e32 v10, v15, v19
	s_cbranch_execnz .LBB3_145
	s_branch .LBB3_149
.LBB3_148:                              ;   in Loop: Header=BB3_146 Depth=2
                                        ; implicit-def: $vgpr10
.LBB3_149:                              ;   in Loop: Header=BB3_146 Depth=2
	v_add_u32_e32 v10, s30, v19
	v_mad_u64_u32 v[10:11], s[24:25], v10, s33, v[8:9]
	s_branch .LBB3_145
.LBB3_150:
	s_mov_b64 s[46:47], -1
	s_branch .LBB3_243
.LBB3_151:
	s_or_b64 exec, exec, s[14:15]
	s_cmp_lt_i32 s33, 1
	s_waitcnt lgkmcnt(0)
	s_cbranch_scc1 .LBB3_173
; %bb.152:
	s_cmp_eq_u64 s[36:37], 8
	v_bfe_u32 v1, v0, 10, 10
	v_cvt_f64_f32_e32 v[6:7], v17
	s_cselect_b64 vcc, -1, 0
	v_or_b32_e32 v5, v4, v1
	v_cndmask_b32_e32 v3, v7, v3, vcc
	v_cmp_eq_u32_e64 s[2:3], 0, v5
	v_mov_b32_e32 v5, 0x48
	v_cndmask_b32_e64 v7, 0, 1, s[52:53]
	v_cndmask_b32_e32 v2, v6, v2, vcc
	s_mov_b32 s18, 0
	v_cmp_eq_u32_e64 s[4:5], 0, v1
	v_lshl_add_u32 v5, v4, 2, v5
	v_mul_u32_u24_e32 v6, 0x44, v1
	v_cmp_ne_u32_e64 s[6:7], 1, v7
.LBB3_153:                              ; =>This Loop Header: Depth=1
                                        ;     Child Loop BB3_165 Depth 2
                                        ;       Child Loop BB3_169 Depth 3
	s_lshl_b32 s8, s18, 2
	s_mul_i32 s19, s18, 0x44
	s_add_i32 s12, s19, s8
	v_mov_b32_e32 v7, s12
	s_waitcnt lgkmcnt(0)
	ds_read_b32 v8, v7
	s_and_b64 vcc, exec, s[6:7]
	s_mov_b64 s[8:9], 0
	s_cbranch_vccnz .LBB3_157
; %bb.154:                              ;   in Loop: Header=BB3_153 Depth=1
	s_waitcnt lgkmcnt(0)
	v_cmp_gt_f32_e32 vcc, 0, v8
	v_cndmask_b32_e64 v7, v8, -v8, vcc
	v_cvt_f64_f32_e32 v[10:11], v7
	v_cmp_ge_f64_e32 vcc, v[2:3], v[10:11]
	v_cndmask_b32_e32 v7, v8, v16, vcc
	s_and_saveexec_b64 s[10:11], s[2:3]
	s_cbranch_execz .LBB3_156
; %bb.155:                              ;   in Loop: Header=BB3_153 Depth=1
	v_mov_b32_e32 v9, s12
	ds_write_b32 v9, v7
.LBB3_156:                              ;   in Loop: Header=BB3_153 Depth=1
	s_or_b64 exec, exec, s[10:11]
	s_mov_b64 s[10:11], -1
	s_cbranch_execz .LBB3_158
	s_branch .LBB3_159
.LBB3_157:                              ;   in Loop: Header=BB3_153 Depth=1
	s_mov_b64 s[10:11], 0
                                        ; implicit-def: $vgpr7
.LBB3_158:                              ;   in Loop: Header=BB3_153 Depth=1
	s_waitcnt lgkmcnt(0)
	v_cmp_neq_f32_e64 s[10:11], 0, v8
	s_mov_b64 s[8:9], -1
	v_mov_b32_e32 v7, v8
.LBB3_159:                              ;   in Loop: Header=BB3_153 Depth=1
	s_andn2_b64 vcc, exec, s[10:11]
                                        ; implicit-def: $sgpr20
	s_cbranch_vccz .LBB3_162
; %bb.160:                              ;   in Loop: Header=BB3_153 Depth=1
	s_andn2_b64 vcc, exec, s[8:9]
	s_cbranch_vccz .LBB3_171
.LBB3_161:                              ;   in Loop: Header=BB3_153 Depth=1
	s_cmp_eq_u32 s20, s33
	s_cbranch_scc0 .LBB3_172
	s_branch .LBB3_173
.LBB3_162:                              ;   in Loop: Header=BB3_153 Depth=1
	s_add_i32 s20, s18, 1
	s_waitcnt lgkmcnt(0)
	v_add_u32_e32 v8, s20, v4
	v_cmp_gt_i32_e32 vcc, s33, v8
	s_and_saveexec_b64 s[10:11], vcc
	s_cbranch_execz .LBB3_170
; %bb.163:                              ;   in Loop: Header=BB3_153 Depth=1
	v_add_u32_e32 v9, s20, v1
	s_mul_i32 s12, s18, 0x48
	v_cmp_gt_i32_e64 s[8:9], s33, v9
	v_add_u32_e32 v10, s12, v6
	s_mov_b64 s[12:13], 0
	v_mov_b32_e32 v11, v5
	s_branch .LBB3_165
.LBB3_164:                              ;   in Loop: Header=BB3_165 Depth=2
	s_or_b64 exec, exec, s[14:15]
	v_add_u32_e32 v8, 16, v8
	v_cmp_le_i32_e32 vcc, s33, v8
	s_or_b64 s[12:13], vcc, s[12:13]
	v_add_u32_e32 v11, 64, v11
	s_andn2_b64 exec, exec, s[12:13]
	s_cbranch_execz .LBB3_170
.LBB3_165:                              ;   Parent Loop BB3_153 Depth=1
                                        ; =>  This Loop Header: Depth=2
                                        ;       Child Loop BB3_169 Depth 3
	v_lshl_add_u32 v13, v8, 2, s19
	ds_read_b32 v12, v13
	s_waitcnt lgkmcnt(0)
	v_div_scale_f32 v14, s[14:15], v7, v7, v12
	v_rcp_f32_e32 v15, v14
	v_div_scale_f32 v17, vcc, v12, v7, v12
	v_fma_f32 v18, -v14, v15, 1.0
	v_fmac_f32_e32 v15, v18, v15
	v_mul_f32_e32 v18, v17, v15
	v_fma_f32 v19, -v14, v18, v17
	v_fmac_f32_e32 v18, v19, v15
	v_fma_f32 v14, -v14, v18, v17
	v_div_fmas_f32 v14, v14, v15, v18
	v_div_fixup_f32 v12, v14, v7, v12
	s_and_saveexec_b64 s[14:15], s[4:5]
	s_cbranch_execz .LBB3_167
; %bb.166:                              ;   in Loop: Header=BB3_165 Depth=2
	ds_write_b32 v13, v12
.LBB3_167:                              ;   in Loop: Header=BB3_165 Depth=2
	s_or_b64 exec, exec, s[14:15]
	s_and_saveexec_b64 s[14:15], s[8:9]
	s_cbranch_execz .LBB3_164
; %bb.168:                              ;   in Loop: Header=BB3_165 Depth=2
	s_mov_b64 s[16:17], 0
	v_mov_b32_e32 v13, v10
	v_mov_b32_e32 v14, v9
.LBB3_169:                              ;   Parent Loop BB3_153 Depth=1
                                        ;     Parent Loop BB3_165 Depth=2
                                        ; =>    This Inner Loop Header: Depth=3
	v_add_u32_e32 v15, v13, v11
	ds_read_b32 v17, v13 offset:68
	ds_read_b32 v18, v15
	v_add_u32_e32 v14, 4, v14
	v_cmp_le_i32_e32 vcc, s33, v14
	v_add_u32_e32 v13, 0x110, v13
	s_or_b64 s[16:17], vcc, s[16:17]
	s_waitcnt lgkmcnt(0)
	v_fma_f32 v17, -v12, v17, v18
	ds_write_b32 v15, v17
	s_andn2_b64 exec, exec, s[16:17]
	s_cbranch_execnz .LBB3_169
	s_branch .LBB3_164
.LBB3_170:                              ;   in Loop: Header=BB3_153 Depth=1
	s_or_b64 exec, exec, s[10:11]
	s_cbranch_execnz .LBB3_161
.LBB3_171:                              ;   in Loop: Header=BB3_153 Depth=1
	s_add_i32 s20, s18, 1
	s_mov_b64 s[46:47], -1
	s_cmp_eq_u32 s20, s33
	s_cbranch_scc1 .LBB3_173
.LBB3_172:                              ;   in Loop: Header=BB3_153 Depth=1
	s_mov_b32 s18, s20
	s_branch .LBB3_153
.LBB3_173:
	s_waitcnt lgkmcnt(0)
	s_and_saveexec_b64 s[12:13], s[0:1]
	s_cbranch_execz .LBB3_195
; %bb.174:
	v_bfe_u32 v2, v0, 10, 10
	v_add_u32_e32 v3, 4, v2
	v_max_i32_e32 v1, s33, v3
	v_xad_u32 v1, v2, -1, v1
	v_lshrrev_b32_e32 v5, 2, v1
	v_add_u32_e32 v6, 1, v5
	v_add_u32_e32 v5, -1, v5
	v_lshrrev_b32_e32 v7, 1, v5
	v_and_b32_e32 v8, 0x7ffffffe, v6
	s_cmp_eq_u32 s50, 0
	s_mul_i32 s26, s48, s33
	v_add_u32_e32 v10, 1, v7
	v_cmp_ne_u32_e64 s[10:11], v6, v8
	v_add_u16_e32 v6, 1, v7
	s_cselect_b64 s[14:15], -1, 0
	s_cmp_lg_u32 s50, 0
	v_cmp_lt_u32_e64 s[4:5], 3, v1
	v_lshl_add_u32 v1, v8, 2, v2
	v_and_b32_e32 v9, 3, v10
	s_movk_i32 s31, 0x44
	v_lshlrev_b32_e32 v8, 2, v4
	v_and_b32_e32 v11, 3, v6
	v_add_u32_e32 v6, s26, v4
	v_cmp_gt_u32_e64 s[0:1], s33, v2
	s_cselect_b64 s[2:3], -1, 0
	s_mov_b32 s27, s26
	s_mov_b32 s30, s33
	v_cmp_lt_u32_e64 s[6:7], 5, v5
	v_cmp_ne_u32_e64 s[8:9], 0, v9
	v_mul_u32_u24_e32 v5, 0x44, v2
	v_mad_u32_u24 v9, v2, s31, v8
	v_and_b32_e32 v10, -4, v10
	v_mul_lo_u32 v12, s33, v6
	s_lshl_b32 s36, s33, 4
	s_mov_b64 s[16:17], 0
	s_movk_i32 s37, 0x110
	v_mov_b32_e32 v13, s29
	s_branch .LBB3_176
.LBB3_175:                              ;   in Loop: Header=BB3_176 Depth=1
	s_or_b64 exec, exec, s[18:19]
	v_add_u32_e32 v4, 16, v4
	v_cmp_le_i32_e32 vcc, s33, v4
	v_add_u32_e32 v9, 64, v9
	v_add_u32_e32 v12, s36, v12
	s_or_b64 s[16:17], vcc, s[16:17]
	v_add_u32_e32 v8, 64, v8
	s_andn2_b64 exec, exec, s[16:17]
	s_cbranch_execz .LBB3_195
.LBB3_176:                              ; =>This Loop Header: Depth=1
                                        ;     Child Loop BB3_180 Depth 2
                                        ;     Child Loop BB3_184 Depth 2
	;; [unrolled: 1-line block ×3, first 2 shown]
	s_and_saveexec_b64 s[18:19], s[0:1]
	s_cbranch_execz .LBB3_175
; %bb.177:                              ;   in Loop: Header=BB3_176 Depth=1
	s_mov_b64 s[22:23], -1
	v_mov_b32_e32 v14, v2
	v_mov_b32_e32 v6, v5
	s_and_saveexec_b64 s[20:21], s[4:5]
	s_cbranch_execz .LBB3_188
; %bb.178:                              ;   in Loop: Header=BB3_176 Depth=1
	v_add_u32_e32 v6, s26, v4
	v_mul_lo_u32 v14, v6, s33
	v_mov_b32_e32 v17, 0
	v_pk_mov_b32 v[6:7], v[2:3], v[2:3] op_sel:[0,1]
	s_and_saveexec_b64 s[22:23], s[6:7]
	s_cbranch_execz .LBB3_182
; %bb.179:                              ;   in Loop: Header=BB3_176 Depth=1
	s_mov_b32 s43, 0
	s_mov_b64 s[24:25], 0
	v_mov_b32_e32 v15, v10
	v_mov_b32_e32 v16, v9
	v_pk_mov_b32 v[6:7], v[2:3], v[2:3] op_sel:[0,1]
.LBB3_180:                              ;   Parent Loop BB3_176 Depth=1
                                        ; =>  This Inner Loop Header: Depth=2
	v_add_u32_e32 v17, s26, v6
	v_add_u32_e32 v22, s27, v7
	;; [unrolled: 1-line block ×4, first 2 shown]
	v_mad_u64_u32 v[24:25], s[52:53], v17, s33, v[4:5]
	v_add_u32_e32 v30, v7, v14
	v_mad_u64_u32 v[22:23], s[52:53], v22, s30, v[4:5]
	v_add_u32_e32 v25, s27, v26
	v_cndmask_b32_e64 v24, v31, v24, s[2:3]
	v_add_u32_e32 v27, 8, v6
	v_add_u32_e32 v15, -4, v15
	v_cndmask_b32_e64 v22, v30, v22, s[2:3]
	v_mad_u64_u32 v[30:31], s[52:53], v25, s30, v[4:5]
	v_ashrrev_i32_e32 v25, 31, v24
	ds_read2_b32 v[18:19], v16 offset1:68
	v_add_u32_e32 v28, 16, v7
	v_add_u32_e32 v29, 16, v6
	;; [unrolled: 1-line block ×4, first 2 shown]
	s_add_i32 s43, s43, 8
	v_add_u32_e32 v23, s26, v27
	v_cmp_eq_u32_e32 vcc, 0, v15
	v_lshlrev_b64 v[24:25], 2, v[24:25]
	v_add_u32_e32 v42, v26, v14
	v_add_u32_e32 v43, v27, v14
	ds_read2_b32 v[26:27], v32 offset0:16 offset1:84
	v_add_u32_e32 v36, s26, v29
	v_add_u32_e32 v35, s27, v28
	;; [unrolled: 1-line block ×4, first 2 shown]
	ds_read2_b32 v[28:29], v32 offset0:152 offset1:220
	v_add_u32_e32 v38, s27, v33
	v_add_u32_e32 v46, v33, v14
	v_mad_u64_u32 v[32:33], s[52:53], v23, s33, v[4:5]
	s_or_b64 s[24:25], vcc, s[24:25]
	v_ashrrev_i32_e32 v23, 31, v22
	v_add_co_u32_e32 v24, vcc, s28, v24
	v_cndmask_b32_e64 v32, v43, v32, s[2:3]
	v_lshlrev_b64 v[22:23], 2, v[22:23]
	v_addc_co_u32_e32 v25, vcc, v13, v25, vcc
	v_ashrrev_i32_e32 v33, 31, v32
	v_add_co_u32_e32 v22, vcc, s28, v22
	v_cndmask_b32_e64 v30, v42, v30, s[2:3]
	v_addc_co_u32_e32 v23, vcc, v13, v23, vcc
	v_lshlrev_b64 v[32:33], 2, v[32:33]
	ds_read2_b32 v[20:21], v16 offset0:136 offset1:204
	v_mad_u64_u32 v[36:37], s[52:53], v36, s33, v[4:5]
	v_ashrrev_i32_e32 v31, 31, v30
	s_waitcnt lgkmcnt(3)
	global_store_dword v[24:25], v18, off
	global_store_dword v[22:23], v19, off
	v_add_co_u32_e32 v18, vcc, s28, v32
	v_add_u32_e32 v34, 24, v6
	v_cndmask_b32_e64 v36, v45, v36, s[2:3]
	v_lshlrev_b64 v[30:31], 2, v[30:31]
	v_addc_co_u32_e32 v19, vcc, v13, v33, vcc
	v_add_u32_e32 v40, s26, v34
	v_add_u32_e32 v47, v34, v14
	v_mad_u64_u32 v[34:35], s[52:53], v35, s30, v[4:5]
	v_ashrrev_i32_e32 v37, 31, v36
	v_add_co_u32_e32 v22, vcc, s28, v30
	v_cndmask_b32_e64 v34, v44, v34, s[2:3]
	v_lshlrev_b64 v[36:37], 2, v[36:37]
	v_addc_co_u32_e32 v23, vcc, v13, v31, vcc
	v_mad_u64_u32 v[40:41], s[52:53], v40, s33, v[4:5]
	v_ashrrev_i32_e32 v35, 31, v34
	v_add_co_u32_e32 v24, vcc, s28, v36
	v_cndmask_b32_e64 v40, v47, v40, s[2:3]
	v_lshlrev_b64 v[34:35], 2, v[34:35]
	v_addc_co_u32_e32 v25, vcc, v13, v37, vcc
	;; [unrolled: 6-line block ×3, first 2 shown]
	v_ashrrev_i32_e32 v39, 31, v38
	v_add_co_u32_e32 v32, vcc, s28, v40
	v_lshlrev_b64 v[38:39], 2, v[38:39]
	v_addc_co_u32_e32 v33, vcc, v13, v41, vcc
	v_add_u32_e32 v7, 32, v7
	v_add_u32_e32 v6, 32, v6
	;; [unrolled: 1-line block ×3, first 2 shown]
	v_mov_b32_e32 v17, s43
	v_add_co_u32_e32 v34, vcc, s28, v38
	v_addc_co_u32_e32 v35, vcc, v13, v39, vcc
	s_waitcnt lgkmcnt(0)
	global_store_dword v[18:19], v20, off
	global_store_dword v[22:23], v21, off
	;; [unrolled: 1-line block ×6, first 2 shown]
	s_andn2_b64 exec, exec, s[24:25]
	s_cbranch_execnz .LBB3_180
; %bb.181:                              ;   in Loop: Header=BB3_176 Depth=1
	s_or_b64 exec, exec, s[24:25]
.LBB3_182:                              ;   in Loop: Header=BB3_176 Depth=1
	s_or_b64 exec, exec, s[22:23]
	s_and_saveexec_b64 s[22:23], s[8:9]
	s_cbranch_execz .LBB3_185
; %bb.183:                              ;   in Loop: Header=BB3_176 Depth=1
	v_mul_lo_u32 v15, v17, s37
	s_mov_b64 s[24:25], 0
	v_mov_b32_e32 v16, v11
.LBB3_184:                              ;   Parent Loop BB3_176 Depth=1
                                        ; =>  This Inner Loop Header: Depth=2
	v_add_u32_e32 v22, s26, v6
	v_add_u32_e32 v25, v6, v14
	v_mad_u64_u32 v[22:23], s[52:53], v22, s33, v[4:5]
	v_add_u32_e32 v17, v9, v15
	v_add_u32_e32 v20, s27, v7
	v_cndmask_b32_e64 v22, v25, v22, s[2:3]
	v_add_u32_e32 v24, v7, v14
	v_add_u32_e32 v16, -1, v16
	ds_read2_b32 v[18:19], v17 offset1:68
	v_mad_u64_u32 v[20:21], s[52:53], v20, s30, v[4:5]
	v_ashrrev_i32_e32 v23, 31, v22
	v_cmp_eq_u32_e32 vcc, 0, v16
	v_cndmask_b32_e64 v20, v24, v20, s[2:3]
	v_lshlrev_b64 v[22:23], 2, v[22:23]
	v_mov_b32_e32 v26, s29
	s_or_b64 s[24:25], vcc, s[24:25]
	v_ashrrev_i32_e32 v21, 31, v20
	v_add_co_u32_e32 v22, vcc, s28, v22
	v_lshlrev_b64 v[20:21], 2, v[20:21]
	v_addc_co_u32_e32 v23, vcc, v26, v23, vcc
	v_mov_b32_e32 v27, s29
	v_add_u32_e32 v7, 8, v7
	v_add_u32_e32 v6, 8, v6
	;; [unrolled: 1-line block ×3, first 2 shown]
	v_add_co_u32_e32 v20, vcc, s28, v20
	v_addc_co_u32_e32 v21, vcc, v27, v21, vcc
	s_waitcnt lgkmcnt(0)
	global_store_dword v[22:23], v18, off
	global_store_dword v[20:21], v19, off
	s_andn2_b64 exec, exec, s[24:25]
	s_cbranch_execnz .LBB3_184
.LBB3_185:                              ;   in Loop: Header=BB3_176 Depth=1
	s_or_b64 exec, exec, s[22:23]
	s_mov_b64 s[22:23], 0
                                        ; implicit-def: $vgpr6
	s_and_saveexec_b64 s[24:25], s[10:11]
	s_xor_b64 s[24:25], exec, s[24:25]
; %bb.186:                              ;   in Loop: Header=BB3_176 Depth=1
	s_mov_b64 s[22:23], exec
	v_mul_lo_u32 v6, v1, s31
; %bb.187:                              ;   in Loop: Header=BB3_176 Depth=1
	s_or_b64 exec, exec, s[24:25]
	s_orn2_b64 s[22:23], s[22:23], exec
	v_mov_b32_e32 v14, v1
.LBB3_188:                              ;   in Loop: Header=BB3_176 Depth=1
	s_or_b64 exec, exec, s[20:21]
	s_and_b64 exec, exec, s[22:23]
	s_cbranch_execz .LBB3_175
; %bb.189:                              ;   in Loop: Header=BB3_176 Depth=1
	v_add_u32_e32 v15, v8, v6
	s_mov_b64 s[20:21], 0
	s_branch .LBB3_191
.LBB3_190:                              ;   in Loop: Header=BB3_191 Depth=2
	v_ashrrev_i32_e32 v7, 31, v6
	v_lshlrev_b64 v[6:7], 2, v[6:7]
	v_mov_b32_e32 v17, s29
	v_add_co_u32_e32 v6, vcc, s28, v6
	v_addc_co_u32_e32 v7, vcc, v17, v7, vcc
	v_add_u32_e32 v14, 4, v14
	v_cmp_le_i32_e32 vcc, s33, v14
	s_or_b64 s[20:21], vcc, s[20:21]
	v_add_u32_e32 v15, 0x110, v15
	s_waitcnt lgkmcnt(0)
	global_store_dword v[6:7], v16, off
	s_andn2_b64 exec, exec, s[20:21]
	s_cbranch_execz .LBB3_175
.LBB3_191:                              ;   Parent Loop BB3_176 Depth=1
                                        ; =>  This Inner Loop Header: Depth=2
	ds_read_b32 v16, v15
	s_andn2_b64 vcc, exec, s[14:15]
	s_cbranch_vccnz .LBB3_193
; %bb.192:                              ;   in Loop: Header=BB3_191 Depth=2
	v_add_u32_e32 v6, v12, v14
	s_cbranch_execnz .LBB3_190
	s_branch .LBB3_194
.LBB3_193:                              ;   in Loop: Header=BB3_191 Depth=2
                                        ; implicit-def: $vgpr6
.LBB3_194:                              ;   in Loop: Header=BB3_191 Depth=2
	v_add_u32_e32 v6, s26, v14
	v_mad_u64_u32 v[6:7], s[22:23], v6, s33, v[4:5]
	s_branch .LBB3_190
.LBB3_195:
	s_or_b64 exec, exec, s[12:13]
.LBB3_196:
	s_add_i32 s26, s48, 1
	s_cmp_ge_i32 s26, s35
	s_cbranch_scc1 .LBB3_243
; %bb.197:
	v_bfe_u32 v2, v0, 10, 10
	v_xad_u32 v1, v2, -1, s33
	v_lshrrev_b32_e32 v3, 2, v1
	v_and_b32_e32 v10, 0x3ff, v0
	v_add_u32_e32 v4, 1, v3
	v_cmp_lt_u32_e64 s[6:7], 3, v1
	v_mov_b32_e32 v1, 0x440
	s_mul_i32 s12, s33, s26
	s_cmp_eq_u32 s50, 0
	v_and_b32_e32 v12, 0x7ffffffe, v4
	v_lshl_add_u32 v15, v10, 2, v1
	v_add_u32_e32 v1, s12, v10
	s_cselect_b64 s[10:11], -1, 0
	s_cmp_gt_i32 s33, 0
	v_cmp_ne_u32_e64 s[8:9], v4, v12
	v_mul_lo_u32 v17, s33, v1
	v_mul_u32_u24_e32 v1, 0x44, v10
	v_lshlrev_b32_e32 v4, 2, v2
	s_movk_i32 s12, 0x444
	s_cselect_b64 s[14:15], -1, 0
	s_cmp_lg_u32 s50, 0
	v_lshl_add_u32 v13, v12, 2, v2
	s_movk_i32 s30, 0x44
	v_add3_u32 v18, v4, v1, s12
	v_cndmask_b32_e64 v1, 0, 1, s[10:11]
	v_cmp_gt_i32_e64 s[0:1], s33, v10
	v_cmp_gt_i32_e64 s[2:3], s33, v2
	s_cselect_b64 s[4:5], -1, 0
	v_add_u32_e32 v11, 1, v2
	v_add_u32_e32 v3, 4, v2
	s_mov_b32 s27, s33
	v_mul_u32_u24_e32 v14, 0x44, v2
	v_mad_u32_u24 v16, v2, s30, v15
	s_mul_i32 s31, s33, s33
	s_lshl_b32 s36, s33, 4
	v_add_u32_e32 v19, 4, v4
	v_mul_lo_u32 v20, v13, s30
	v_cmp_ne_u32_e64 s[10:11], 1, v1
.LBB3_198:                              ; =>This Loop Header: Depth=1
                                        ;     Child Loop BB3_201 Depth 2
                                        ;       Child Loop BB3_204 Depth 3
                                        ;       Child Loop BB3_211 Depth 3
                                        ;     Child Loop BB3_218 Depth 2
                                        ;       Child Loop BB3_221 Depth 3
                                        ;         Child Loop BB3_223 Depth 4
                                        ;     Child Loop BB3_227 Depth 2
                                        ;       Child Loop BB3_230 Depth 3
                                        ;       Child Loop BB3_237 Depth 3
	s_mul_i32 s37, s26, s33
	s_waitcnt lgkmcnt(0)
	s_and_saveexec_b64 s[12:13], s[0:1]
	s_cbranch_execz .LBB3_215
; %bb.199:                              ;   in Loop: Header=BB3_198 Depth=1
	s_mov_b32 s43, s37
	s_mov_b64 s[16:17], 0
	v_mov_b32_e32 v21, v15
	v_mov_b32_e32 v22, v17
	;; [unrolled: 1-line block ×4, first 2 shown]
	s_branch .LBB3_201
.LBB3_200:                              ;   in Loop: Header=BB3_201 Depth=2
	s_or_b64 exec, exec, s[18:19]
	v_add_u32_e32 v4, 16, v4
	v_cmp_le_i32_e32 vcc, s33, v4
	v_add_u32_e32 v23, 64, v23
	v_add_u32_e32 v22, s36, v22
	s_or_b64 s[16:17], vcc, s[16:17]
	v_add_u32_e32 v21, 64, v21
	s_andn2_b64 exec, exec, s[16:17]
	s_cbranch_execz .LBB3_215
.LBB3_201:                              ;   Parent Loop BB3_198 Depth=1
                                        ; =>  This Loop Header: Depth=2
                                        ;       Child Loop BB3_204 Depth 3
                                        ;       Child Loop BB3_211 Depth 3
	s_and_saveexec_b64 s[18:19], s[2:3]
	s_cbranch_execz .LBB3_200
; %bb.202:                              ;   in Loop: Header=BB3_201 Depth=2
	s_mov_b64 s[22:23], -1
	v_mov_b32_e32 v1, v2
	v_mov_b32_e32 v5, v14
	s_and_saveexec_b64 s[20:21], s[6:7]
	s_cbranch_execz .LBB3_208
; %bb.203:                              ;   in Loop: Header=BB3_201 Depth=2
	v_add_u32_e32 v1, s37, v4
	v_mul_lo_u32 v6, v1, s33
	v_mov_b32_e32 v5, v4
	v_mov_b32_e32 v1, v6
	s_mov_b64 s[22:23], 0
	v_mov_b32_e32 v7, v12
	v_mov_b32_e32 v24, v23
	v_pk_mov_b32 v[8:9], v[2:3], v[2:3] op_sel:[0,1]
.LBB3_204:                              ;   Parent Loop BB3_198 Depth=1
                                        ;     Parent Loop BB3_201 Depth=2
                                        ; =>    This Inner Loop Header: Depth=3
	v_add_u32_e32 v25, s37, v8
	v_add_u32_e32 v31, v8, v6
	v_mad_u64_u32 v[28:29], s[24:25], v25, s33, v[4:5]
	v_add_u32_e32 v27, s43, v9
	v_mov_b32_e32 v26, v5
	v_cndmask_b32_e64 v28, v31, v28, s[4:5]
	v_add_u32_e32 v30, v9, v1
	v_mad_u64_u32 v[26:27], s[24:25], v27, s27, v[26:27]
	v_ashrrev_i32_e32 v29, 31, v28
	v_cndmask_b32_e64 v26, v30, v26, s[4:5]
	v_lshlrev_b64 v[28:29], 2, v[28:29]
	v_mov_b32_e32 v32, s29
	v_ashrrev_i32_e32 v27, 31, v26
	v_add_co_u32_e32 v28, vcc, s28, v28
	v_lshlrev_b64 v[26:27], 2, v[26:27]
	v_addc_co_u32_e32 v29, vcc, v32, v29, vcc
	v_mov_b32_e32 v33, s29
	v_add_co_u32_e32 v26, vcc, s28, v26
	v_addc_co_u32_e32 v27, vcc, v33, v27, vcc
	global_load_dword v25, v[28:29], off
	global_load_dword v30, v[26:27], off
	v_add_u32_e32 v7, -2, v7
	v_cmp_eq_u32_e32 vcc, 0, v7
	v_add_u32_e32 v9, 8, v9
	v_add_u32_e32 v8, 8, v8
	s_or_b64 s[22:23], vcc, s[22:23]
	s_waitcnt vmcnt(0)
	ds_write2_b32 v24, v25, v30 offset1:68
	v_add_u32_e32 v24, 0x220, v24
	s_andn2_b64 exec, exec, s[22:23]
	s_cbranch_execnz .LBB3_204
; %bb.205:                              ;   in Loop: Header=BB3_201 Depth=2
	s_or_b64 exec, exec, s[22:23]
	s_mov_b64 s[22:23], 0
	s_and_saveexec_b64 s[24:25], s[8:9]
	s_xor_b64 s[24:25], exec, s[24:25]
; %bb.206:                              ;   in Loop: Header=BB3_201 Depth=2
	s_mov_b64 s[22:23], exec
; %bb.207:                              ;   in Loop: Header=BB3_201 Depth=2
	s_or_b64 exec, exec, s[24:25]
	s_orn2_b64 s[22:23], s[22:23], exec
	v_mov_b32_e32 v1, v13
	v_mov_b32_e32 v5, v20
.LBB3_208:                              ;   in Loop: Header=BB3_201 Depth=2
	s_or_b64 exec, exec, s[20:21]
	s_and_b64 exec, exec, s[22:23]
	s_cbranch_execz .LBB3_200
; %bb.209:                              ;   in Loop: Header=BB3_201 Depth=2
	v_add_u32_e32 v5, v21, v5
	s_mov_b64 s[20:21], 0
	s_branch .LBB3_211
.LBB3_210:                              ;   in Loop: Header=BB3_211 Depth=3
	v_ashrrev_i32_e32 v7, 31, v6
	v_lshlrev_b64 v[6:7], 2, v[6:7]
	v_mov_b32_e32 v8, s29
	v_add_co_u32_e32 v6, vcc, s28, v6
	v_addc_co_u32_e32 v7, vcc, v8, v7, vcc
	global_load_dword v6, v[6:7], off
	v_add_u32_e32 v1, 4, v1
	v_cmp_le_i32_e32 vcc, s33, v1
	s_or_b64 s[20:21], vcc, s[20:21]
	s_waitcnt vmcnt(0)
	ds_write_b32 v5, v6
	v_add_u32_e32 v5, 0x110, v5
	s_andn2_b64 exec, exec, s[20:21]
	s_cbranch_execz .LBB3_200
.LBB3_211:                              ;   Parent Loop BB3_198 Depth=1
                                        ;     Parent Loop BB3_201 Depth=2
                                        ; =>    This Inner Loop Header: Depth=3
	s_and_b64 vcc, exec, s[10:11]
	s_cbranch_vccnz .LBB3_213
; %bb.212:                              ;   in Loop: Header=BB3_211 Depth=3
	v_add_u32_e32 v6, v22, v1
	s_cbranch_execnz .LBB3_210
	s_branch .LBB3_214
.LBB3_213:                              ;   in Loop: Header=BB3_211 Depth=3
                                        ; implicit-def: $vgpr6
.LBB3_214:                              ;   in Loop: Header=BB3_211 Depth=3
	v_add_u32_e32 v6, s37, v1
	v_mad_u64_u32 v[6:7], s[22:23], v6, s33, v[4:5]
	s_branch .LBB3_210
.LBB3_215:                              ;   in Loop: Header=BB3_198 Depth=1
	s_or_b64 exec, exec, s[12:13]
	s_andn2_b64 vcc, exec, s[14:15]
	s_waitcnt lgkmcnt(0)
	s_cbranch_vccnz .LBB3_224
; %bb.216:                              ;   in Loop: Header=BB3_198 Depth=1
	s_mov_b32 s24, 0
	v_mov_b32_e32 v1, v19
	v_mov_b32_e32 v4, v18
	s_branch .LBB3_218
.LBB3_217:                              ;   in Loop: Header=BB3_218 Depth=2
	s_or_b64 exec, exec, s[16:17]
	s_add_i32 s24, s24, 1
	v_add_u32_e32 v4, 4, v4
	s_cmp_eq_u32 s24, s33
	v_add_u32_e32 v1, 0x48, v1
	s_cbranch_scc1 .LBB3_224
.LBB3_218:                              ;   Parent Loop BB3_198 Depth=1
                                        ; =>  This Loop Header: Depth=2
                                        ;       Child Loop BB3_221 Depth 3
                                        ;         Child Loop BB3_223 Depth 4
	s_and_saveexec_b64 s[16:17], s[0:1]
	s_cbranch_execz .LBB3_217
; %bb.219:                              ;   in Loop: Header=BB3_218 Depth=2
	v_add_u32_e32 v5, s24, v11
	s_lshl_b32 s25, s24, 2
	v_cmp_gt_i32_e32 vcc, s33, v5
	s_mov_b64 s[18:19], 0
	s_addk_i32 s25, 0x440
	v_mov_b32_e32 v6, v4
	v_mov_b32_e32 v7, v10
	s_branch .LBB3_221
.LBB3_220:                              ;   in Loop: Header=BB3_221 Depth=3
	s_or_b64 exec, exec, s[20:21]
	v_add_u32_e32 v7, 16, v7
	v_cmp_le_i32_e64 s[12:13], s33, v7
	s_or_b64 s[18:19], s[12:13], s[18:19]
	v_add_u32_e32 v6, 0x440, v6
	s_andn2_b64 exec, exec, s[18:19]
	s_cbranch_execz .LBB3_217
.LBB3_221:                              ;   Parent Loop BB3_198 Depth=1
                                        ;     Parent Loop BB3_218 Depth=2
                                        ; =>    This Loop Header: Depth=3
                                        ;         Child Loop BB3_223 Depth 4
	s_and_saveexec_b64 s[20:21], vcc
	s_cbranch_execz .LBB3_220
; %bb.222:                              ;   in Loop: Header=BB3_221 Depth=3
	v_mul_lo_u32 v8, v7, s30
	v_add_u32_e32 v8, s25, v8
	s_mov_b64 s[22:23], 0
	v_mov_b32_e32 v9, v1
	v_mov_b32_e32 v21, v6
	;; [unrolled: 1-line block ×3, first 2 shown]
.LBB3_223:                              ;   Parent Loop BB3_198 Depth=1
                                        ;     Parent Loop BB3_218 Depth=2
                                        ;       Parent Loop BB3_221 Depth=3
                                        ; =>      This Inner Loop Header: Depth=4
	ds_read_b32 v23, v9
	ds_read_b32 v24, v8
	;; [unrolled: 1-line block ×3, first 2 shown]
	v_add_u32_e32 v22, 4, v22
	v_cmp_le_i32_e64 s[12:13], s33, v22
	s_or_b64 s[22:23], s[12:13], s[22:23]
	v_add_u32_e32 v9, 16, v9
	s_waitcnt lgkmcnt(0)
	v_fma_f32 v23, -v23, v24, v25
	ds_write_b32 v21, v23
	v_add_u32_e32 v21, 16, v21
	s_andn2_b64 exec, exec, s[22:23]
	s_cbranch_execnz .LBB3_223
	s_branch .LBB3_220
.LBB3_224:                              ;   in Loop: Header=BB3_198 Depth=1
	s_waitcnt lgkmcnt(0)
	s_and_saveexec_b64 s[12:13], s[0:1]
	s_cbranch_execz .LBB3_241
; %bb.225:                              ;   in Loop: Header=BB3_198 Depth=1
	s_mov_b32 s43, s37
	s_mov_b64 s[16:17], 0
	v_mov_b32_e32 v21, v15
	v_mov_b32_e32 v22, v17
	;; [unrolled: 1-line block ×4, first 2 shown]
	s_branch .LBB3_227
.LBB3_226:                              ;   in Loop: Header=BB3_227 Depth=2
	s_or_b64 exec, exec, s[18:19]
	v_add_u32_e32 v4, 16, v4
	v_cmp_le_i32_e32 vcc, s33, v4
	v_add_u32_e32 v23, 64, v23
	v_add_u32_e32 v22, s36, v22
	s_or_b64 s[16:17], vcc, s[16:17]
	v_add_u32_e32 v21, 64, v21
	s_andn2_b64 exec, exec, s[16:17]
	s_cbranch_execz .LBB3_241
.LBB3_227:                              ;   Parent Loop BB3_198 Depth=1
                                        ; =>  This Loop Header: Depth=2
                                        ;       Child Loop BB3_230 Depth 3
                                        ;       Child Loop BB3_237 Depth 3
	s_and_saveexec_b64 s[18:19], s[2:3]
	s_cbranch_execz .LBB3_226
; %bb.228:                              ;   in Loop: Header=BB3_227 Depth=2
	s_mov_b64 s[22:23], -1
	v_mov_b32_e32 v1, v2
	v_mov_b32_e32 v5, v14
	s_and_saveexec_b64 s[20:21], s[6:7]
	s_cbranch_execz .LBB3_234
; %bb.229:                              ;   in Loop: Header=BB3_227 Depth=2
	v_add_u32_e32 v1, s37, v4
	v_mul_lo_u32 v6, v1, s33
	v_mov_b32_e32 v5, v4
	v_mov_b32_e32 v1, v6
	s_mov_b64 s[22:23], 0
	v_mov_b32_e32 v7, v12
	v_mov_b32_e32 v24, v23
	v_pk_mov_b32 v[8:9], v[2:3], v[2:3] op_sel:[0,1]
.LBB3_230:                              ;   Parent Loop BB3_198 Depth=1
                                        ;     Parent Loop BB3_227 Depth=2
                                        ; =>    This Inner Loop Header: Depth=3
	v_add_u32_e32 v25, s37, v8
	v_add_u32_e32 v33, v8, v6
	v_mad_u64_u32 v[30:31], s[24:25], v25, s33, v[4:5]
	v_add_u32_e32 v29, s43, v9
	v_mov_b32_e32 v28, v5
	v_cndmask_b32_e64 v30, v33, v30, s[4:5]
	ds_read2_b32 v[26:27], v24 offset1:68
	v_add_u32_e32 v32, v9, v1
	v_add_u32_e32 v7, -2, v7
	v_mad_u64_u32 v[28:29], s[24:25], v29, s27, v[28:29]
	v_ashrrev_i32_e32 v31, 31, v30
	v_cmp_eq_u32_e32 vcc, 0, v7
	v_cndmask_b32_e64 v28, v32, v28, s[4:5]
	v_lshlrev_b64 v[30:31], 2, v[30:31]
	v_mov_b32_e32 v34, s29
	s_or_b64 s[22:23], vcc, s[22:23]
	v_ashrrev_i32_e32 v29, 31, v28
	v_add_co_u32_e32 v30, vcc, s28, v30
	v_lshlrev_b64 v[28:29], 2, v[28:29]
	v_addc_co_u32_e32 v31, vcc, v34, v31, vcc
	v_mov_b32_e32 v35, s29
	v_add_u32_e32 v9, 8, v9
	v_add_u32_e32 v8, 8, v8
	v_add_u32_e32 v24, 0x220, v24
	v_add_co_u32_e32 v28, vcc, s28, v28
	v_addc_co_u32_e32 v29, vcc, v35, v29, vcc
	s_waitcnt lgkmcnt(0)
	global_store_dword v[30:31], v26, off
	global_store_dword v[28:29], v27, off
	s_andn2_b64 exec, exec, s[22:23]
	s_cbranch_execnz .LBB3_230
; %bb.231:                              ;   in Loop: Header=BB3_227 Depth=2
	s_or_b64 exec, exec, s[22:23]
	s_mov_b64 s[22:23], 0
                                        ; implicit-def: $vgpr5
	s_and_saveexec_b64 s[24:25], s[8:9]
	s_xor_b64 s[24:25], exec, s[24:25]
; %bb.232:                              ;   in Loop: Header=BB3_227 Depth=2
	s_mov_b64 s[22:23], exec
	v_mul_lo_u32 v5, v13, s30
; %bb.233:                              ;   in Loop: Header=BB3_227 Depth=2
	s_or_b64 exec, exec, s[24:25]
	s_orn2_b64 s[22:23], s[22:23], exec
	v_mov_b32_e32 v1, v13
.LBB3_234:                              ;   in Loop: Header=BB3_227 Depth=2
	s_or_b64 exec, exec, s[20:21]
	s_and_b64 exec, exec, s[22:23]
	s_cbranch_execz .LBB3_226
; %bb.235:                              ;   in Loop: Header=BB3_227 Depth=2
	v_add_u32_e32 v5, v21, v5
	s_mov_b64 s[20:21], 0
	s_branch .LBB3_237
.LBB3_236:                              ;   in Loop: Header=BB3_237 Depth=3
	v_ashrrev_i32_e32 v7, 31, v6
	v_lshlrev_b64 v[6:7], 2, v[6:7]
	v_mov_b32_e32 v9, s29
	v_add_co_u32_e32 v6, vcc, s28, v6
	v_addc_co_u32_e32 v7, vcc, v9, v7, vcc
	v_add_u32_e32 v1, 4, v1
	v_cmp_le_i32_e32 vcc, s33, v1
	s_or_b64 s[20:21], vcc, s[20:21]
	v_add_u32_e32 v5, 0x110, v5
	s_waitcnt lgkmcnt(0)
	global_store_dword v[6:7], v8, off
	s_andn2_b64 exec, exec, s[20:21]
	s_cbranch_execz .LBB3_226
.LBB3_237:                              ;   Parent Loop BB3_198 Depth=1
                                        ;     Parent Loop BB3_227 Depth=2
                                        ; =>    This Inner Loop Header: Depth=3
	ds_read_b32 v8, v5
	s_and_b64 vcc, exec, s[10:11]
	s_cbranch_vccnz .LBB3_239
; %bb.238:                              ;   in Loop: Header=BB3_237 Depth=3
	v_add_u32_e32 v6, v22, v1
	s_cbranch_execnz .LBB3_236
	s_branch .LBB3_240
.LBB3_239:                              ;   in Loop: Header=BB3_237 Depth=3
                                        ; implicit-def: $vgpr6
.LBB3_240:                              ;   in Loop: Header=BB3_237 Depth=3
	v_add_u32_e32 v6, s37, v1
	v_mad_u64_u32 v[6:7], s[22:23], v6, s33, v[4:5]
	s_branch .LBB3_236
.LBB3_241:                              ;   in Loop: Header=BB3_198 Depth=1
	s_or_b64 exec, exec, s[12:13]
; %bb.242:                              ;   in Loop: Header=BB3_198 Depth=1
	s_add_i32 s26, s26, 1
	s_cmp_ge_i32 s26, s35
	v_add_u32_e32 v17, s31, v17
	s_cbranch_scc0 .LBB3_198
.LBB3_243:
	v_and_b32_e32 v1, 0x3ff, v0
	v_bfe_u32 v0, v0, 10, 10
	v_or_b32_e32 v0, v1, v0
	v_cmp_eq_u32_e32 vcc, 0, v0
	s_and_saveexec_b64 s[0:1], vcc
	s_cbranch_execz .LBB3_247
; %bb.244:
	s_add_u32 s0, s40, s44
	s_addc_u32 s1, s41, s45
	v_mov_b32_e32 v0, 0
	v_mov_b32_e32 v1, 1
	s_andn2_b64 vcc, exec, s[46:47]
	s_waitcnt vmcnt(0)
	global_store_dword v0, v1, s[0:1]
	s_cbranch_vccnz .LBB3_247
; %bb.245:
	v_mbcnt_lo_u32_b32 v0, exec_lo, 0
	v_mbcnt_hi_u32_b32 v0, exec_hi, v0
	v_cmp_eq_u32_e32 vcc, 0, v0
	s_and_b64 exec, exec, vcc
	s_cbranch_execz .LBB3_247
; %bb.246:
	s_add_i32 s0, s42, s34
	v_mov_b32_e32 v0, 0
	v_mov_b32_e32 v1, s0
	global_atomic_smin v0, v1, s[38:39]
.LBB3_247:
	s_endpgm
	.section	.rodata,"a",@progbits
	.p2align	6, 0x0
	.amdhsa_kernel _ZN9rocsparseL12bsrilu0_9_32ILj64ELj64ELj16EfEEv20rocsparse_direction_iPKiS3_PT2_S3_iPiS3_S6_21rocsparse_index_base_imNS_24const_host_device_scalarIfEENS8_IdEENS8_IS4_EEb
		.amdhsa_group_segment_fixed_size 2176
		.amdhsa_private_segment_fixed_size 0
		.amdhsa_kernarg_size 116
		.amdhsa_user_sgpr_count 6
		.amdhsa_user_sgpr_private_segment_buffer 1
		.amdhsa_user_sgpr_dispatch_ptr 0
		.amdhsa_user_sgpr_queue_ptr 0
		.amdhsa_user_sgpr_kernarg_segment_ptr 1
		.amdhsa_user_sgpr_dispatch_id 0
		.amdhsa_user_sgpr_flat_scratch_init 0
		.amdhsa_user_sgpr_kernarg_preload_length 0
		.amdhsa_user_sgpr_kernarg_preload_offset 0
		.amdhsa_user_sgpr_private_segment_size 0
		.amdhsa_uses_dynamic_stack 0
		.amdhsa_system_sgpr_private_segment_wavefront_offset 0
		.amdhsa_system_sgpr_workgroup_id_x 1
		.amdhsa_system_sgpr_workgroup_id_y 0
		.amdhsa_system_sgpr_workgroup_id_z 0
		.amdhsa_system_sgpr_workgroup_info 0
		.amdhsa_system_vgpr_workitem_id 1
		.amdhsa_next_free_vgpr 52
		.amdhsa_next_free_sgpr 84
		.amdhsa_accum_offset 52
		.amdhsa_reserve_vcc 1
		.amdhsa_reserve_flat_scratch 0
		.amdhsa_float_round_mode_32 0
		.amdhsa_float_round_mode_16_64 0
		.amdhsa_float_denorm_mode_32 3
		.amdhsa_float_denorm_mode_16_64 3
		.amdhsa_dx10_clamp 1
		.amdhsa_ieee_mode 1
		.amdhsa_fp16_overflow 0
		.amdhsa_tg_split 0
		.amdhsa_exception_fp_ieee_invalid_op 0
		.amdhsa_exception_fp_denorm_src 0
		.amdhsa_exception_fp_ieee_div_zero 0
		.amdhsa_exception_fp_ieee_overflow 0
		.amdhsa_exception_fp_ieee_underflow 0
		.amdhsa_exception_fp_ieee_inexact 0
		.amdhsa_exception_int_div_zero 0
	.end_amdhsa_kernel
	.section	.text._ZN9rocsparseL12bsrilu0_9_32ILj64ELj64ELj16EfEEv20rocsparse_direction_iPKiS3_PT2_S3_iPiS3_S6_21rocsparse_index_base_imNS_24const_host_device_scalarIfEENS8_IdEENS8_IS4_EEb,"axG",@progbits,_ZN9rocsparseL12bsrilu0_9_32ILj64ELj64ELj16EfEEv20rocsparse_direction_iPKiS3_PT2_S3_iPiS3_S6_21rocsparse_index_base_imNS_24const_host_device_scalarIfEENS8_IdEENS8_IS4_EEb,comdat
.Lfunc_end3:
	.size	_ZN9rocsparseL12bsrilu0_9_32ILj64ELj64ELj16EfEEv20rocsparse_direction_iPKiS3_PT2_S3_iPiS3_S6_21rocsparse_index_base_imNS_24const_host_device_scalarIfEENS8_IdEENS8_IS4_EEb, .Lfunc_end3-_ZN9rocsparseL12bsrilu0_9_32ILj64ELj64ELj16EfEEv20rocsparse_direction_iPKiS3_PT2_S3_iPiS3_S6_21rocsparse_index_base_imNS_24const_host_device_scalarIfEENS8_IdEENS8_IS4_EEb
                                        ; -- End function
	.section	.AMDGPU.csdata,"",@progbits
; Kernel info:
; codeLenInByte = 8840
; NumSgprs: 88
; NumVgprs: 52
; NumAgprs: 0
; TotalNumVgprs: 52
; ScratchSize: 0
; MemoryBound: 0
; FloatMode: 240
; IeeeMode: 1
; LDSByteSize: 2176 bytes/workgroup (compile time only)
; SGPRBlocks: 10
; VGPRBlocks: 6
; NumSGPRsForWavesPerEU: 88
; NumVGPRsForWavesPerEU: 52
; AccumOffset: 52
; Occupancy: 8
; WaveLimiterHint : 1
; COMPUTE_PGM_RSRC2:SCRATCH_EN: 0
; COMPUTE_PGM_RSRC2:USER_SGPR: 6
; COMPUTE_PGM_RSRC2:TRAP_HANDLER: 0
; COMPUTE_PGM_RSRC2:TGID_X_EN: 1
; COMPUTE_PGM_RSRC2:TGID_Y_EN: 0
; COMPUTE_PGM_RSRC2:TGID_Z_EN: 0
; COMPUTE_PGM_RSRC2:TIDIG_COMP_CNT: 1
; COMPUTE_PGM_RSRC3_GFX90A:ACCUM_OFFSET: 12
; COMPUTE_PGM_RSRC3_GFX90A:TG_SPLIT: 0
	.section	.text._ZN9rocsparseL12bsrilu0_9_32ILj64ELj64ELj32EfEEv20rocsparse_direction_iPKiS3_PT2_S3_iPiS3_S6_21rocsparse_index_base_imNS_24const_host_device_scalarIfEENS8_IdEENS8_IS4_EEb,"axG",@progbits,_ZN9rocsparseL12bsrilu0_9_32ILj64ELj64ELj32EfEEv20rocsparse_direction_iPKiS3_PT2_S3_iPiS3_S6_21rocsparse_index_base_imNS_24const_host_device_scalarIfEENS8_IdEENS8_IS4_EEb,comdat
	.globl	_ZN9rocsparseL12bsrilu0_9_32ILj64ELj64ELj32EfEEv20rocsparse_direction_iPKiS3_PT2_S3_iPiS3_S6_21rocsparse_index_base_imNS_24const_host_device_scalarIfEENS8_IdEENS8_IS4_EEb ; -- Begin function _ZN9rocsparseL12bsrilu0_9_32ILj64ELj64ELj32EfEEv20rocsparse_direction_iPKiS3_PT2_S3_iPiS3_S6_21rocsparse_index_base_imNS_24const_host_device_scalarIfEENS8_IdEENS8_IS4_EEb
	.p2align	8
	.type	_ZN9rocsparseL12bsrilu0_9_32ILj64ELj64ELj32EfEEv20rocsparse_direction_iPKiS3_PT2_S3_iPiS3_S6_21rocsparse_index_base_imNS_24const_host_device_scalarIfEENS8_IdEENS8_IS4_EEb,@function
_ZN9rocsparseL12bsrilu0_9_32ILj64ELj64ELj32EfEEv20rocsparse_direction_iPKiS3_PT2_S3_iPiS3_S6_21rocsparse_index_base_imNS_24const_host_device_scalarIfEENS8_IdEENS8_IS4_EEb: ; @_ZN9rocsparseL12bsrilu0_9_32ILj64ELj64ELj32EfEEv20rocsparse_direction_iPKiS3_PT2_S3_iPiS3_S6_21rocsparse_index_base_imNS_24const_host_device_scalarIfEENS8_IdEENS8_IS4_EEb
; %bb.0:
	s_load_dword s0, s[4:5], 0x70
	s_load_dwordx2 s[34:35], s[4:5], 0x48
	s_load_dwordx8 s[36:43], s[4:5], 0x50
	s_waitcnt lgkmcnt(0)
	s_bitcmp1_b32 s0, 0
	s_cselect_b64 s[0:1], -1, 0
	s_cmp_lg_u32 s35, 0
	s_cselect_b64 s[52:53], -1, 0
	s_cmp_eq_u32 s35, 0
	s_cselect_b64 s[2:3], -1, 0
	s_and_b64 s[8:9], s[2:3], exec
	s_cselect_b32 s10, 0, s40
	s_cselect_b32 s11, 0, s41
	s_or_b64 s[0:1], s[2:3], s[0:1]
	s_xor_b64 s[8:9], s[0:1], -1
	s_and_b64 vcc, exec, s[0:1]
	s_cbranch_vccnz .LBB4_2
; %bb.1:
	s_load_dword s0, s[38:39], 0x0
	s_mov_b64 s[10:11], s[40:41]
	s_waitcnt lgkmcnt(0)
	v_mov_b32_e32 v17, s0
	s_branch .LBB4_3
.LBB4_2:
	v_mov_b32_e32 v1, s38
	v_cndmask_b32_e64 v17, v1, 0, s[2:3]
.LBB4_3:
	v_cndmask_b32_e64 v1, 0, 1, s[8:9]
	v_cmp_ne_u32_e64 s[0:1], 1, v1
	s_andn2_b64 vcc, exec, s[8:9]
	v_pk_mov_b32 v[2:3], s[10:11], s[10:11] op_sel:[0,1]
	s_cbranch_vccnz .LBB4_5
; %bb.4:
	v_pk_mov_b32 v[2:3], s[40:41], s[40:41] op_sel:[0,1]
	flat_load_dwordx2 v[2:3], v[2:3]
.LBB4_5:
	s_and_b64 vcc, exec, s[0:1]
	s_mov_b32 s7, 0
	s_cbranch_vccnz .LBB4_7
; %bb.6:
	s_load_dword s0, s[42:43], 0x0
	s_waitcnt lgkmcnt(0)
	v_mov_b32_e32 v16, s0
	s_branch .LBB4_8
.LBB4_7:
	v_mov_b32_e32 v1, s42
	v_cndmask_b32_e64 v16, v1, 0, s[2:3]
.LBB4_8:
	s_load_dwordx4 s[40:43], s[4:5], 0x30
	s_load_dwordx2 s[38:39], s[4:5], 0x40
	s_lshl_b64 s[0:1], s[6:7], 2
	s_waitcnt lgkmcnt(0)
	s_add_u32 s0, s42, s0
	s_addc_u32 s1, s43, s1
	s_load_dword s42, s[0:1], 0x0
	s_load_dwordx8 s[24:31], s[4:5], 0x8
	s_waitcnt lgkmcnt(0)
	s_ashr_i32 s43, s42, 31
	s_lshl_b64 s[44:45], s[42:43], 2
	s_add_u32 s0, s30, s44
	s_addc_u32 s1, s31, s45
	s_load_dword s48, s[0:1], 0x0
	s_waitcnt lgkmcnt(0)
	s_cmp_eq_u32 s48, -1
	s_cbranch_scc1 .LBB4_150
; %bb.9:
	s_add_u32 s0, s24, s44
	s_addc_u32 s1, s25, s45
	s_load_dwordx2 s[2:3], s[0:1], 0x0
	s_load_dwordx2 s[50:51], s[4:5], 0x0
	s_load_dword s33, s[4:5], 0x28
	s_mov_b64 s[46:47], 0
	s_waitcnt lgkmcnt(0)
	s_sub_i32 s54, s2, s34
	s_sub_i32 s35, s3, s34
	s_cmp_ge_i32 s54, s48
	s_cbranch_scc1 .LBB4_127
; %bb.10:
	v_bfe_u32 v4, v0, 10, 10
	v_and_b32_e32 v18, 0x3ff, v0
	v_lshlrev_b32_e32 v1, 5, v4
	v_add3_u32 v6, v1, v18, s54
	v_ashrrev_i32_e32 v7, 31, v6
	s_cmp_eq_u32 s50, 0
	v_lshlrev_b64 v[8:9], 2, v[6:7]
	s_cselect_b64 s[56:57], -1, 0
	s_cmp_gt_i32 s33, 0
	v_mov_b32_e32 v1, s27
	v_add_co_u32_e32 v8, vcc, s26, v8
	s_cselect_b64 s[58:59], -1, 0
	s_add_i32 s43, s51, 1
	v_addc_co_u32_e32 v9, vcc, v1, v9, vcc
	v_xad_u32 v1, v4, -1, s33
	s_cmp_lg_u32 s50, 0
	v_lshrrev_b32_e32 v5, 1, v1
	s_cselect_b64 s[6:7], -1, 0
	v_add_u32_e32 v10, 1, v5
	s_add_u32 s70, s24, 4
	s_mul_i32 s16, s33, s54
	v_lshlrev_b32_e32 v21, 2, v18
	v_cmp_lt_u32_e64 s[12:13], 1, v1
	v_and_b32_e32 v22, -2, v10
	s_movk_i32 s51, 0x84
	s_addc_u32 s71, s25, 0
	v_add_u32_e32 v1, s16, v18
	v_lshl_add_u32 v23, v22, 1, v4
	v_add_u32_e32 v24, 0x1080, v21
	s_add_u32 s72, s26, 0x100
	v_mad_u32_u24 v27, v4, s51, v21
	v_mul_lo_u32 v29, s33, v1
	v_mbcnt_lo_u32_b32 v1, -1, 0
	v_cmp_gt_i32_e64 s[0:1], s33, v18
	v_cmp_le_i32_e64 s[2:3], s33, v18
	v_cmp_gt_i32_e64 s[4:5], s33, v4
	v_cmp_eq_u32_e64 s[8:9], 0, v4
	v_add_u32_e32 v19, 1, v4
	v_cmp_gt_i32_e64 s[10:11], s35, v6
	v_add_u32_e32 v7, 3, v4
	v_sub_u32_e32 v20, -2, v4
	v_add_u32_e32 v5, 2, v4
	s_mov_b32 s49, s33
	v_cmp_ne_u32_e64 s[14:15], v10, v22
	v_mad_u32_u24 v25, v4, s51, v24
	s_addc_u32 s73, s27, 0
	v_mul_u32_u24_e32 v26, 0x84, v4
	v_add_u32_e32 v28, 0x1080, v27
	s_mul_i32 s74, s33, s33
	s_lshl_b32 s75, s33, 5
	v_add_u32_e32 v30, 0x1104, v27
	v_mad_u32_u24 v31, v4, s51, s51
	v_mov_b32_e32 v32, 0
	v_mul_lo_u32 v33, v23, s51
	s_movk_i32 s76, 0x108
	v_mbcnt_hi_u32_b32 v34, -1, v1
	s_branch .LBB4_13
.LBB4_11:                               ;   in Loop: Header=BB4_13 Depth=1
	s_mov_b64 s[46:47], -1
.LBB4_12:                               ;   in Loop: Header=BB4_13 Depth=1
	s_add_i32 s54, s54, 1
	s_cmp_lt_i32 s54, s48
	s_cselect_b64 s[16:17], -1, 0
	s_and_b64 s[16:17], s[24:25], s[16:17]
	v_add_u32_e32 v29, s74, v29
	s_and_b64 vcc, exec, s[16:17]
	s_cbranch_vccz .LBB4_127
.LBB4_13:                               ; =>This Loop Header: Depth=1
                                        ;     Child Loop BB4_16 Depth 2
                                        ;       Child Loop BB4_19 Depth 3
                                        ;       Child Loop BB4_26 Depth 3
                                        ;     Child Loop BB4_32 Depth 2
                                        ;     Child Loop BB4_36 Depth 2
                                        ;       Child Loop BB4_39 Depth 3
                                        ;       Child Loop BB4_46 Depth 3
                                        ;     Child Loop BB4_53 Depth 2
                                        ;       Child Loop BB4_56 Depth 3
                                        ;         Child Loop BB4_61 Depth 4
                                        ;         Child Loop BB4_65 Depth 4
                                        ;     Child Loop BB4_69 Depth 2
                                        ;       Child Loop BB4_72 Depth 3
                                        ;       Child Loop BB4_79 Depth 3
                                        ;     Child Loop BB4_88 Depth 2
                                        ;       Child Loop BB4_93 Depth 3
                                        ;       Child Loop BB4_102 Depth 3
                                        ;         Child Loop BB4_105 Depth 4
                                        ;         Child Loop BB4_112 Depth 4
                                        ;       Child Loop BB4_118 Depth 3
                                        ;         Child Loop BB4_121 Depth 4
                                        ;           Child Loop BB4_122 Depth 5
	s_ashr_i32 s55, s54, 31
	s_lshl_b64 s[16:17], s[54:55], 2
	s_add_u32 s16, s26, s16
	s_addc_u32 s17, s27, s17
	global_load_dword v1, v32, s[16:17]
	s_waitcnt vmcnt(0)
	v_readfirstlane_b32 s55, v1
	s_and_saveexec_b64 s[16:17], s[0:1]
	s_cbranch_execz .LBB4_30
; %bb.14:                               ;   in Loop: Header=BB4_13 Depth=1
	s_mul_i32 s62, s54, s33
	s_mov_b32 s63, s62
	s_mov_b64 s[18:19], 0
	v_mov_b32_e32 v35, v24
	v_mov_b32_e32 v36, v29
	;; [unrolled: 1-line block ×4, first 2 shown]
	s_branch .LBB4_16
.LBB4_15:                               ;   in Loop: Header=BB4_16 Depth=2
	s_or_b64 exec, exec, s[20:21]
	v_add_u32_e32 v10, 32, v10
	v_cmp_le_i32_e32 vcc, s33, v10
	v_add_u32_e32 v37, 0x80, v37
	v_add_u32_e32 v36, s75, v36
	s_or_b64 s[18:19], vcc, s[18:19]
	v_add_u32_e32 v35, 0x80, v35
	s_andn2_b64 exec, exec, s[18:19]
	s_cbranch_execz .LBB4_30
.LBB4_16:                               ;   Parent Loop BB4_13 Depth=1
                                        ; =>  This Loop Header: Depth=2
                                        ;       Child Loop BB4_19 Depth 3
                                        ;       Child Loop BB4_26 Depth 3
	s_and_saveexec_b64 s[20:21], s[4:5]
	s_cbranch_execz .LBB4_15
; %bb.17:                               ;   in Loop: Header=BB4_16 Depth=2
	s_mov_b64 s[24:25], -1
	v_mov_b32_e32 v1, v4
	v_mov_b32_e32 v11, v26
	s_and_saveexec_b64 s[22:23], s[12:13]
	s_cbranch_execz .LBB4_23
; %bb.18:                               ;   in Loop: Header=BB4_16 Depth=2
	v_add_u32_e32 v1, s62, v10
	v_mul_lo_u32 v12, v1, s33
	v_mov_b32_e32 v11, v10
	v_mov_b32_e32 v1, v12
	s_mov_b64 s[24:25], 0
	v_mov_b32_e32 v13, v22
	v_mov_b32_e32 v38, v37
	v_pk_mov_b32 v[14:15], v[4:5], v[4:5] op_sel:[0,1]
.LBB4_19:                               ;   Parent Loop BB4_13 Depth=1
                                        ;     Parent Loop BB4_16 Depth=2
                                        ; =>    This Inner Loop Header: Depth=3
	v_add_u32_e32 v39, s62, v14
	v_add_u32_e32 v45, v14, v12
	v_mad_u64_u32 v[42:43], s[60:61], v39, s33, v[10:11]
	v_add_u32_e32 v41, s63, v15
	v_mov_b32_e32 v40, v11
	v_cndmask_b32_e64 v42, v45, v42, s[6:7]
	v_add_u32_e32 v44, v15, v1
	v_mad_u64_u32 v[40:41], s[60:61], v41, s49, v[40:41]
	v_ashrrev_i32_e32 v43, 31, v42
	v_cndmask_b32_e64 v40, v44, v40, s[6:7]
	v_lshlrev_b64 v[42:43], 2, v[42:43]
	v_mov_b32_e32 v46, s29
	v_ashrrev_i32_e32 v41, 31, v40
	v_add_co_u32_e32 v42, vcc, s28, v42
	v_lshlrev_b64 v[40:41], 2, v[40:41]
	v_addc_co_u32_e32 v43, vcc, v46, v43, vcc
	v_mov_b32_e32 v47, s29
	v_add_co_u32_e32 v40, vcc, s28, v40
	v_addc_co_u32_e32 v41, vcc, v47, v41, vcc
	global_load_dword v39, v[42:43], off
	s_nop 0
	global_load_dword v40, v[40:41], off
	v_add_u32_e32 v13, -2, v13
	v_cmp_eq_u32_e32 vcc, 0, v13
	v_add_u32_e32 v15, 4, v15
	v_add_u32_e32 v14, 4, v14
	s_or_b64 s[24:25], vcc, s[24:25]
	s_waitcnt vmcnt(0)
	ds_write2_b32 v38, v39, v40 offset1:66
	v_add_u32_e32 v38, 0x210, v38
	s_andn2_b64 exec, exec, s[24:25]
	s_cbranch_execnz .LBB4_19
; %bb.20:                               ;   in Loop: Header=BB4_16 Depth=2
	s_or_b64 exec, exec, s[24:25]
	s_mov_b64 s[24:25], 0
	s_and_saveexec_b64 s[60:61], s[14:15]
	s_xor_b64 s[60:61], exec, s[60:61]
; %bb.21:                               ;   in Loop: Header=BB4_16 Depth=2
	s_mov_b64 s[24:25], exec
; %bb.22:                               ;   in Loop: Header=BB4_16 Depth=2
	s_or_b64 exec, exec, s[60:61]
	s_orn2_b64 s[24:25], s[24:25], exec
	v_mov_b32_e32 v1, v23
	v_mov_b32_e32 v11, v33
.LBB4_23:                               ;   in Loop: Header=BB4_16 Depth=2
	s_or_b64 exec, exec, s[22:23]
	s_and_b64 exec, exec, s[24:25]
	s_cbranch_execz .LBB4_15
; %bb.24:                               ;   in Loop: Header=BB4_16 Depth=2
	v_add_u32_e32 v11, v35, v11
	s_mov_b64 s[22:23], 0
	s_branch .LBB4_26
.LBB4_25:                               ;   in Loop: Header=BB4_26 Depth=3
	v_ashrrev_i32_e32 v13, 31, v12
	v_lshlrev_b64 v[12:13], 2, v[12:13]
	v_mov_b32_e32 v14, s29
	v_add_co_u32_e32 v12, vcc, s28, v12
	v_addc_co_u32_e32 v13, vcc, v14, v13, vcc
	global_load_dword v12, v[12:13], off
	v_add_u32_e32 v1, 2, v1
	v_cmp_le_i32_e32 vcc, s33, v1
	s_or_b64 s[22:23], vcc, s[22:23]
	s_waitcnt vmcnt(0)
	ds_write_b32 v11, v12
	v_add_u32_e32 v11, 0x108, v11
	s_andn2_b64 exec, exec, s[22:23]
	s_cbranch_execz .LBB4_15
.LBB4_26:                               ;   Parent Loop BB4_13 Depth=1
                                        ;     Parent Loop BB4_16 Depth=2
                                        ; =>    This Inner Loop Header: Depth=3
	s_andn2_b64 vcc, exec, s[56:57]
	s_cbranch_vccnz .LBB4_28
; %bb.27:                               ;   in Loop: Header=BB4_26 Depth=3
	v_add_u32_e32 v12, v36, v1
	s_cbranch_execnz .LBB4_25
	s_branch .LBB4_29
.LBB4_28:                               ;   in Loop: Header=BB4_26 Depth=3
                                        ; implicit-def: $vgpr12
.LBB4_29:                               ;   in Loop: Header=BB4_26 Depth=3
	v_add_u32_e32 v12, s62, v1
	v_mad_u64_u32 v[12:13], s[24:25], v12, s33, v[10:11]
	s_branch .LBB4_25
.LBB4_30:                               ;   in Loop: Header=BB4_13 Depth=1
	s_or_b64 exec, exec, s[16:17]
	s_sub_i32 s16, s55, s34
	s_ashr_i32 s17, s16, 31
	s_lshl_b64 s[16:17], s[16:17], 2
	s_add_u32 s18, s30, s16
	s_addc_u32 s19, s31, s17
	global_load_dword v1, v32, s[18:19]
	s_waitcnt vmcnt(0)
	v_readfirstlane_b32 s55, v1
	v_cmp_eq_u32_e32 vcc, -1, v1
	s_cmp_lg_u32 s55, -1
	s_cselect_b64 s[24:25], -1, 0
	s_cbranch_vccnz .LBB4_11
; %bb.31:                               ;   in Loop: Header=BB4_13 Depth=1
	s_add_u32 s18, s70, s16
	s_addc_u32 s19, s71, s17
	global_load_dword v1, v32, s[18:19]
	s_add_u32 s16, s40, s16
	s_addc_u32 s17, s41, s17
	s_waitcnt vmcnt(0)
	v_readfirstlane_b32 s77, v1
.LBB4_32:                               ;   Parent Loop BB4_13 Depth=1
                                        ; =>  This Inner Loop Header: Depth=2
	global_load_dword v1, v32, s[16:17] glc
	s_waitcnt vmcnt(0)
	v_cmp_eq_u32_e32 vcc, 0, v1
	s_cbranch_vccnz .LBB4_32
; %bb.33:                               ;   in Loop: Header=BB4_13 Depth=1
	s_waitcnt lgkmcnt(0)
	buffer_wbinvl1_vol
	s_and_saveexec_b64 s[16:17], s[0:1]
	s_cbranch_execz .LBB4_50
; %bb.34:                               ;   in Loop: Header=BB4_13 Depth=1
	s_mul_i32 s64, s55, s33
	v_add_u32_e32 v1, s64, v18
	s_mov_b32 s65, s64
	v_mul_lo_u32 v35, s33, v1
	s_mov_b64 s[18:19], 0
	v_mov_b32_e32 v36, v21
	v_mov_b32_e32 v37, v27
	;; [unrolled: 1-line block ×3, first 2 shown]
	s_branch .LBB4_36
.LBB4_35:                               ;   in Loop: Header=BB4_36 Depth=2
	s_or_b64 exec, exec, s[20:21]
	v_add_u32_e32 v10, 32, v10
	v_cmp_le_i32_e32 vcc, s33, v10
	v_add_u32_e32 v37, 0x80, v37
	v_add_u32_e32 v35, s75, v35
	s_or_b64 s[18:19], vcc, s[18:19]
	v_add_u32_e32 v36, 0x80, v36
	s_andn2_b64 exec, exec, s[18:19]
	s_cbranch_execz .LBB4_50
.LBB4_36:                               ;   Parent Loop BB4_13 Depth=1
                                        ; =>  This Loop Header: Depth=2
                                        ;       Child Loop BB4_39 Depth 3
                                        ;       Child Loop BB4_46 Depth 3
	s_and_saveexec_b64 s[20:21], s[4:5]
	s_cbranch_execz .LBB4_35
; %bb.37:                               ;   in Loop: Header=BB4_36 Depth=2
	s_mov_b64 s[60:61], -1
	v_mov_b32_e32 v1, v4
	v_mov_b32_e32 v11, v26
	s_and_saveexec_b64 s[22:23], s[12:13]
	s_cbranch_execz .LBB4_43
; %bb.38:                               ;   in Loop: Header=BB4_36 Depth=2
	v_add_u32_e32 v1, s64, v10
	v_mul_lo_u32 v12, v1, s33
	v_mov_b32_e32 v11, v10
	v_mov_b32_e32 v1, v12
	s_mov_b64 s[60:61], 0
	v_mov_b32_e32 v13, v22
	v_mov_b32_e32 v38, v37
	v_pk_mov_b32 v[14:15], v[4:5], v[4:5] op_sel:[0,1]
.LBB4_39:                               ;   Parent Loop BB4_13 Depth=1
                                        ;     Parent Loop BB4_36 Depth=2
                                        ; =>    This Inner Loop Header: Depth=3
	v_add_u32_e32 v39, s64, v14
	v_add_u32_e32 v45, v14, v12
	v_mad_u64_u32 v[42:43], s[62:63], v39, s33, v[10:11]
	v_add_u32_e32 v41, s65, v15
	v_mov_b32_e32 v40, v11
	v_cndmask_b32_e64 v42, v45, v42, s[6:7]
	v_add_u32_e32 v44, v15, v1
	v_mad_u64_u32 v[40:41], s[62:63], v41, s49, v[40:41]
	v_ashrrev_i32_e32 v43, 31, v42
	v_cndmask_b32_e64 v40, v44, v40, s[6:7]
	v_lshlrev_b64 v[42:43], 2, v[42:43]
	v_mov_b32_e32 v46, s29
	v_ashrrev_i32_e32 v41, 31, v40
	v_add_co_u32_e32 v42, vcc, s28, v42
	v_lshlrev_b64 v[40:41], 2, v[40:41]
	v_addc_co_u32_e32 v43, vcc, v46, v43, vcc
	v_mov_b32_e32 v47, s29
	v_add_co_u32_e32 v40, vcc, s28, v40
	v_addc_co_u32_e32 v41, vcc, v47, v41, vcc
	global_load_dword v39, v[42:43], off
	s_nop 0
	global_load_dword v40, v[40:41], off
	v_add_u32_e32 v13, -2, v13
	v_cmp_eq_u32_e32 vcc, 0, v13
	v_add_u32_e32 v15, 4, v15
	v_add_u32_e32 v14, 4, v14
	s_or_b64 s[60:61], vcc, s[60:61]
	s_waitcnt vmcnt(0)
	ds_write2_b32 v38, v39, v40 offset1:66
	v_add_u32_e32 v38, 0x210, v38
	s_andn2_b64 exec, exec, s[60:61]
	s_cbranch_execnz .LBB4_39
; %bb.40:                               ;   in Loop: Header=BB4_36 Depth=2
	s_or_b64 exec, exec, s[60:61]
	s_mov_b64 s[60:61], 0
	s_and_saveexec_b64 s[62:63], s[14:15]
	s_xor_b64 s[62:63], exec, s[62:63]
; %bb.41:                               ;   in Loop: Header=BB4_36 Depth=2
	s_mov_b64 s[60:61], exec
; %bb.42:                               ;   in Loop: Header=BB4_36 Depth=2
	s_or_b64 exec, exec, s[62:63]
	s_orn2_b64 s[60:61], s[60:61], exec
	v_mov_b32_e32 v1, v23
	v_mov_b32_e32 v11, v33
.LBB4_43:                               ;   in Loop: Header=BB4_36 Depth=2
	s_or_b64 exec, exec, s[22:23]
	s_and_b64 exec, exec, s[60:61]
	s_cbranch_execz .LBB4_35
; %bb.44:                               ;   in Loop: Header=BB4_36 Depth=2
	v_add_u32_e32 v11, v36, v11
	s_mov_b64 s[22:23], 0
	s_branch .LBB4_46
.LBB4_45:                               ;   in Loop: Header=BB4_46 Depth=3
	v_ashrrev_i32_e32 v13, 31, v12
	v_lshlrev_b64 v[12:13], 2, v[12:13]
	v_mov_b32_e32 v14, s29
	v_add_co_u32_e32 v12, vcc, s28, v12
	v_addc_co_u32_e32 v13, vcc, v14, v13, vcc
	global_load_dword v12, v[12:13], off
	v_add_u32_e32 v1, 2, v1
	v_cmp_le_i32_e32 vcc, s33, v1
	s_or_b64 s[22:23], vcc, s[22:23]
	s_waitcnt vmcnt(0)
	ds_write_b32 v11, v12
	v_add_u32_e32 v11, 0x108, v11
	s_andn2_b64 exec, exec, s[22:23]
	s_cbranch_execz .LBB4_35
.LBB4_46:                               ;   Parent Loop BB4_13 Depth=1
                                        ;     Parent Loop BB4_36 Depth=2
                                        ; =>    This Inner Loop Header: Depth=3
	s_andn2_b64 vcc, exec, s[56:57]
	s_cbranch_vccnz .LBB4_48
; %bb.47:                               ;   in Loop: Header=BB4_46 Depth=3
	v_add_u32_e32 v12, v35, v1
	s_cbranch_execnz .LBB4_45
	s_branch .LBB4_49
.LBB4_48:                               ;   in Loop: Header=BB4_46 Depth=3
                                        ; implicit-def: $vgpr12
.LBB4_49:                               ;   in Loop: Header=BB4_46 Depth=3
	v_add_u32_e32 v12, s64, v1
	v_mad_u64_u32 v[12:13], s[60:61], v12, s33, v[10:11]
	s_branch .LBB4_45
.LBB4_50:                               ;   in Loop: Header=BB4_13 Depth=1
	s_or_b64 exec, exec, s[16:17]
	s_andn2_b64 vcc, exec, s[58:59]
	s_waitcnt lgkmcnt(0)
	s_cbranch_vccnz .LBB4_66
; %bb.51:                               ;   in Loop: Header=BB4_13 Depth=1
	s_mov_b32 s78, 0
	s_mov_b32 s79, 0
	v_mov_b32_e32 v1, v20
	v_mov_b32_e32 v12, v7
	;; [unrolled: 1-line block ×4, first 2 shown]
	s_branch .LBB4_53
.LBB4_52:                               ;   in Loop: Header=BB4_53 Depth=2
	s_or_b64 exec, exec, s[60:61]
	s_add_i32 s79, s79, 1
	s_add_i32 s78, s78, 4
	v_add_u32_e32 v14, 0x84, v14
	v_add_u32_e32 v13, 0x88, v13
	;; [unrolled: 1-line block ×3, first 2 shown]
	s_cmp_eq_u32 s79, s33
	v_add_u32_e32 v1, -1, v1
	s_waitcnt lgkmcnt(0)
	s_cbranch_scc1 .LBB4_66
.LBB4_53:                               ;   Parent Loop BB4_13 Depth=1
                                        ; =>  This Loop Header: Depth=2
                                        ;       Child Loop BB4_56 Depth 3
                                        ;         Child Loop BB4_61 Depth 4
                                        ;         Child Loop BB4_65 Depth 4
	s_and_saveexec_b64 s[60:61], s[0:1]
	s_cbranch_execz .LBB4_52
; %bb.54:                               ;   in Loop: Header=BB4_53 Depth=2
	v_max_i32_e32 v10, s33, v12
	v_add_u32_e32 v10, v10, v1
	v_lshrrev_b32_e32 v10, 1, v10
	v_add_u32_e32 v10, 1, v10
	s_mul_i32 s80, s79, 0x84
	s_lshl_b32 s16, s79, 2
	v_and_b32_e32 v15, -2, v10
	v_add_u32_e32 v10, s79, v7
	s_add_i32 s16, s80, s16
	v_max_i32_e32 v10, s33, v10
	v_subrev_u32_e32 v11, s79, v20
	v_mov_b32_e32 v35, s16
	v_add_u32_e32 v10, v10, v11
	ds_read_b32 v35, v35
	v_lshrrev_b32_e32 v11, 1, v10
	v_add_u32_e32 v40, 1, v11
	v_cmp_gt_u32_e64 s[18:19], 34, v10
	v_mul_hi_u32 v10, v11, s76
	v_add_u32_e32 v36, s79, v19
	v_cmp_ne_u32_e64 s[20:21], 0, v10
	v_and_b32_e32 v10, -2, v40
	v_cmp_gt_i32_e64 s[16:17], s33, v36
	v_add_u32_e32 v37, s80, v25
	v_mul_lo_u32 v38, v11, s76
	s_mov_b32 s81, 0
	v_lshl_add_u32 v39, v10, 1, v36
	v_cmp_ne_u32_e64 s[22:23], v40, v10
	s_mov_b64 s[62:63], 0
	v_mov_b32_e32 v40, v24
	v_mov_b32_e32 v41, v14
	v_mov_b32_e32 v42, v18
	s_branch .LBB4_56
.LBB4_55:                               ;   in Loop: Header=BB4_56 Depth=3
	s_or_b64 exec, exec, s[64:65]
	v_add_u32_e32 v42, 32, v42
	s_add_i32 s81, s81, 1
	v_cmp_le_i32_e32 vcc, s33, v42
	v_add_u32_e32 v41, 0x80, v41
	s_or_b64 s[62:63], vcc, s[62:63]
	v_add_u32_e32 v40, 0x80, v40
	s_andn2_b64 exec, exec, s[62:63]
	s_cbranch_execz .LBB4_52
.LBB4_56:                               ;   Parent Loop BB4_13 Depth=1
                                        ;     Parent Loop BB4_53 Depth=2
                                        ; =>    This Loop Header: Depth=3
                                        ;         Child Loop BB4_61 Depth 4
                                        ;         Child Loop BB4_65 Depth 4
	v_lshl_add_u32 v10, v42, 2, s80
	ds_read_b32 v11, v10 offset:4224
	s_waitcnt lgkmcnt(0)
	v_div_scale_f32 v43, s[64:65], v35, v35, v11
	v_rcp_f32_e32 v44, v43
	v_div_scale_f32 v45, vcc, v11, v35, v11
	v_fma_f32 v46, -v43, v44, 1.0
	v_fmac_f32_e32 v44, v46, v44
	v_mul_f32_e32 v46, v45, v44
	v_fma_f32 v47, -v43, v46, v45
	v_fmac_f32_e32 v46, v47, v44
	v_fma_f32 v43, -v43, v46, v45
	v_div_fmas_f32 v43, v43, v44, v46
	v_div_fixup_f32 v43, v43, v35, v11
	s_and_saveexec_b64 s[64:65], s[8:9]
	s_cbranch_execz .LBB4_58
; %bb.57:                               ;   in Loop: Header=BB4_56 Depth=3
	v_add_u32_e32 v10, 0x1080, v10
	ds_write_b32 v10, v43
.LBB4_58:                               ;   in Loop: Header=BB4_56 Depth=3
	s_or_b64 exec, exec, s[64:65]
	s_and_saveexec_b64 s[64:65], s[16:17]
	s_cbranch_execz .LBB4_55
; %bb.59:                               ;   in Loop: Header=BB4_56 Depth=3
	v_lshl_add_u32 v10, s81, 7, v37
	v_add_u32_e32 v10, 0x84, v10
	v_add_u32_e32 v11, v10, v38
	v_cmp_lt_u32_e32 vcc, v11, v10
	s_or_b64 s[66:67], vcc, s[20:21]
	s_or_b64 s[66:67], s[18:19], s[66:67]
	s_mov_b64 s[68:69], -1
	s_xor_b64 s[82:83], s[66:67], -1
	v_mov_b32_e32 v10, v36
	s_and_saveexec_b64 s[66:67], s[82:83]
	s_cbranch_execz .LBB4_63
; %bb.60:                               ;   in Loop: Header=BB4_56 Depth=3
	v_xor_b32_e32 v10, 0x80000000, v43
	v_mov_b32_e32 v11, v10
	s_mov_b64 s[68:69], 0
	v_mov_b32_e32 v44, v15
	v_mov_b32_e32 v45, v13
	v_mov_b32_e32 v46, v41
.LBB4_61:                               ;   Parent Loop BB4_13 Depth=1
                                        ;     Parent Loop BB4_53 Depth=2
                                        ;       Parent Loop BB4_56 Depth=3
                                        ; =>      This Inner Loop Header: Depth=4
	ds_read2_b32 v[48:49], v45 offset1:66
	ds_read2_b32 v[50:51], v46 offset1:66
	v_add_u32_e32 v44, -2, v44
	v_cmp_eq_u32_e32 vcc, 0, v44
	s_or_b64 s[68:69], vcc, s[68:69]
	v_add_u32_e32 v45, 0x210, v45
	s_waitcnt lgkmcnt(0)
	v_pk_fma_f32 v[48:49], v[10:11], v[48:49], v[50:51]
	ds_write2_b32 v46, v48, v49 offset1:66
	v_add_u32_e32 v46, 0x210, v46
	s_andn2_b64 exec, exec, s[68:69]
	s_cbranch_execnz .LBB4_61
; %bb.62:                               ;   in Loop: Header=BB4_56 Depth=3
	s_or_b64 exec, exec, s[68:69]
	s_orn2_b64 s[68:69], s[22:23], exec
	v_mov_b32_e32 v10, v39
.LBB4_63:                               ;   in Loop: Header=BB4_56 Depth=3
	s_or_b64 exec, exec, s[66:67]
	s_and_b64 exec, exec, s[68:69]
	s_cbranch_execz .LBB4_55
; %bb.64:                               ;   in Loop: Header=BB4_56 Depth=3
	v_mul_lo_u32 v44, v10, s51
	v_add_u32_e32 v11, v40, v44
	v_add_u32_e32 v44, s78, v44
	s_mov_b64 s[66:67], 0
.LBB4_65:                               ;   Parent Loop BB4_13 Depth=1
                                        ;     Parent Loop BB4_53 Depth=2
                                        ;       Parent Loop BB4_56 Depth=3
                                        ; =>      This Inner Loop Header: Depth=4
	ds_read_b32 v45, v44
	ds_read_b32 v46, v11
	v_add_u32_e32 v10, 2, v10
	v_cmp_le_i32_e32 vcc, s33, v10
	s_or_b64 s[66:67], vcc, s[66:67]
	v_add_u32_e32 v44, 0x108, v44
	s_waitcnt lgkmcnt(0)
	v_fma_f32 v45, -v43, v45, v46
	ds_write_b32 v11, v45
	v_add_u32_e32 v11, 0x108, v11
	s_andn2_b64 exec, exec, s[66:67]
	s_cbranch_execnz .LBB4_65
	s_branch .LBB4_55
.LBB4_66:                               ;   in Loop: Header=BB4_13 Depth=1
	s_and_saveexec_b64 s[16:17], s[0:1]
	s_cbranch_execz .LBB4_83
; %bb.67:                               ;   in Loop: Header=BB4_13 Depth=1
	s_mul_i32 s64, s54, s33
	s_mov_b32 s65, s64
	s_mov_b64 s[18:19], 0
	v_mov_b32_e32 v35, v24
	v_mov_b32_e32 v36, v29
	;; [unrolled: 1-line block ×4, first 2 shown]
	s_branch .LBB4_69
.LBB4_68:                               ;   in Loop: Header=BB4_69 Depth=2
	s_or_b64 exec, exec, s[20:21]
	v_add_u32_e32 v10, 32, v10
	v_cmp_le_i32_e32 vcc, s33, v10
	v_add_u32_e32 v37, 0x80, v37
	v_add_u32_e32 v36, s75, v36
	s_or_b64 s[18:19], vcc, s[18:19]
	v_add_u32_e32 v35, 0x80, v35
	s_andn2_b64 exec, exec, s[18:19]
	s_cbranch_execz .LBB4_83
.LBB4_69:                               ;   Parent Loop BB4_13 Depth=1
                                        ; =>  This Loop Header: Depth=2
                                        ;       Child Loop BB4_72 Depth 3
                                        ;       Child Loop BB4_79 Depth 3
	s_and_saveexec_b64 s[20:21], s[4:5]
	s_cbranch_execz .LBB4_68
; %bb.70:                               ;   in Loop: Header=BB4_69 Depth=2
	s_mov_b64 s[60:61], -1
	v_mov_b32_e32 v1, v4
	v_mov_b32_e32 v11, v26
	s_and_saveexec_b64 s[22:23], s[12:13]
	s_cbranch_execz .LBB4_76
; %bb.71:                               ;   in Loop: Header=BB4_69 Depth=2
	v_add_u32_e32 v1, s64, v10
	v_mul_lo_u32 v12, v1, s33
	v_mov_b32_e32 v11, v10
	v_mov_b32_e32 v1, v12
	s_mov_b64 s[60:61], 0
	v_mov_b32_e32 v13, v22
	v_mov_b32_e32 v38, v37
	v_pk_mov_b32 v[14:15], v[4:5], v[4:5] op_sel:[0,1]
.LBB4_72:                               ;   Parent Loop BB4_13 Depth=1
                                        ;     Parent Loop BB4_69 Depth=2
                                        ; =>    This Inner Loop Header: Depth=3
	v_add_u32_e32 v39, s64, v14
	v_add_u32_e32 v47, v14, v12
	v_mad_u64_u32 v[44:45], s[62:63], v39, s33, v[10:11]
	v_add_u32_e32 v43, s65, v15
	v_mov_b32_e32 v42, v11
	v_cndmask_b32_e64 v44, v47, v44, s[6:7]
	ds_read2_b32 v[40:41], v38 offset1:66
	v_add_u32_e32 v46, v15, v1
	v_add_u32_e32 v13, -2, v13
	v_mad_u64_u32 v[42:43], s[62:63], v43, s49, v[42:43]
	v_ashrrev_i32_e32 v45, 31, v44
	v_cmp_eq_u32_e32 vcc, 0, v13
	v_cndmask_b32_e64 v42, v46, v42, s[6:7]
	v_lshlrev_b64 v[44:45], 2, v[44:45]
	v_mov_b32_e32 v48, s29
	s_or_b64 s[60:61], vcc, s[60:61]
	v_ashrrev_i32_e32 v43, 31, v42
	v_add_co_u32_e32 v44, vcc, s28, v44
	v_lshlrev_b64 v[42:43], 2, v[42:43]
	v_addc_co_u32_e32 v45, vcc, v48, v45, vcc
	v_mov_b32_e32 v49, s29
	v_add_u32_e32 v15, 4, v15
	v_add_u32_e32 v14, 4, v14
	;; [unrolled: 1-line block ×3, first 2 shown]
	v_add_co_u32_e32 v42, vcc, s28, v42
	v_addc_co_u32_e32 v43, vcc, v49, v43, vcc
	s_waitcnt lgkmcnt(0)
	global_store_dword v[44:45], v40, off
	global_store_dword v[42:43], v41, off
	s_andn2_b64 exec, exec, s[60:61]
	s_cbranch_execnz .LBB4_72
; %bb.73:                               ;   in Loop: Header=BB4_69 Depth=2
	s_or_b64 exec, exec, s[60:61]
	s_mov_b64 s[60:61], 0
	s_and_saveexec_b64 s[62:63], s[14:15]
	s_xor_b64 s[62:63], exec, s[62:63]
; %bb.74:                               ;   in Loop: Header=BB4_69 Depth=2
	s_mov_b64 s[60:61], exec
; %bb.75:                               ;   in Loop: Header=BB4_69 Depth=2
	s_or_b64 exec, exec, s[62:63]
	s_orn2_b64 s[60:61], s[60:61], exec
	v_mov_b32_e32 v1, v23
	v_mov_b32_e32 v11, v33
.LBB4_76:                               ;   in Loop: Header=BB4_69 Depth=2
	s_or_b64 exec, exec, s[22:23]
	s_and_b64 exec, exec, s[60:61]
	s_cbranch_execz .LBB4_68
; %bb.77:                               ;   in Loop: Header=BB4_69 Depth=2
	v_add_u32_e32 v11, v35, v11
	s_mov_b64 s[22:23], 0
	s_branch .LBB4_79
.LBB4_78:                               ;   in Loop: Header=BB4_79 Depth=3
	v_ashrrev_i32_e32 v13, 31, v12
	v_lshlrev_b64 v[12:13], 2, v[12:13]
	v_mov_b32_e32 v15, s29
	v_add_co_u32_e32 v12, vcc, s28, v12
	v_addc_co_u32_e32 v13, vcc, v15, v13, vcc
	v_add_u32_e32 v1, 2, v1
	v_cmp_le_i32_e32 vcc, s33, v1
	s_or_b64 s[22:23], vcc, s[22:23]
	v_add_u32_e32 v11, 0x108, v11
	s_waitcnt lgkmcnt(0)
	global_store_dword v[12:13], v14, off
	s_andn2_b64 exec, exec, s[22:23]
	s_cbranch_execz .LBB4_68
.LBB4_79:                               ;   Parent Loop BB4_13 Depth=1
                                        ;     Parent Loop BB4_69 Depth=2
                                        ; =>    This Inner Loop Header: Depth=3
	ds_read_b32 v14, v11
	s_andn2_b64 vcc, exec, s[56:57]
	s_cbranch_vccnz .LBB4_81
; %bb.80:                               ;   in Loop: Header=BB4_79 Depth=3
	v_add_u32_e32 v12, v36, v1
	s_cbranch_execnz .LBB4_78
	s_branch .LBB4_82
.LBB4_81:                               ;   in Loop: Header=BB4_79 Depth=3
                                        ; implicit-def: $vgpr12
.LBB4_82:                               ;   in Loop: Header=BB4_79 Depth=3
	v_add_u32_e32 v12, s64, v1
	v_mad_u64_u32 v[12:13], s[60:61], v12, s33, v[10:11]
	s_branch .LBB4_78
.LBB4_83:                               ;   in Loop: Header=BB4_13 Depth=1
	s_or_b64 exec, exec, s[16:17]
	s_sub_i32 s66, s77, s34
	s_add_i32 s16, s55, 1
	s_cmp_ge_i32 s16, s66
	s_cbranch_scc1 .LBB4_12
; %bb.84:                               ;   in Loop: Header=BB4_13 Depth=1
	s_mul_i32 s17, s33, s16
	v_add_u32_e32 v1, s17, v18
	v_mul_lo_u32 v35, s33, v1
	s_branch .LBB4_88
.LBB4_85:                               ;   in Loop: Header=BB4_88 Depth=2
	s_or_b64 exec, exec, s[20:21]
.LBB4_86:                               ;   in Loop: Header=BB4_88 Depth=2
	s_or_b64 exec, exec, s[18:19]
.LBB4_87:                               ;   in Loop: Header=BB4_88 Depth=2
	s_add_i32 s16, s16, 1
	s_cmp_lt_i32 s16, s66
	v_add_u32_e32 v35, s74, v35
	s_waitcnt lgkmcnt(0)
	s_cbranch_scc0 .LBB4_12
.LBB4_88:                               ;   Parent Loop BB4_13 Depth=1
                                        ; =>  This Loop Header: Depth=2
                                        ;       Child Loop BB4_93 Depth 3
                                        ;       Child Loop BB4_102 Depth 3
                                        ;         Child Loop BB4_105 Depth 4
                                        ;         Child Loop BB4_112 Depth 4
                                        ;       Child Loop BB4_118 Depth 3
                                        ;         Child Loop BB4_121 Depth 4
                                        ;           Child Loop BB4_122 Depth 5
	s_ashr_i32 s17, s16, 31
	s_lshl_b64 s[18:19], s[16:17], 2
	s_add_u32 s18, s26, s18
	s_addc_u32 s19, s27, s19
	global_load_dword v1, v32, s[18:19]
	v_mov_b32_e32 v11, s43
	s_and_saveexec_b64 s[18:19], s[10:11]
	s_cbranch_execz .LBB4_90
; %bb.89:                               ;   in Loop: Header=BB4_88 Depth=2
	global_load_dword v10, v[8:9], off
	s_waitcnt vmcnt(0)
	v_subrev_u32_e32 v11, s34, v10
.LBB4_90:                               ;   in Loop: Header=BB4_88 Depth=2
	s_or_b64 exec, exec, s[18:19]
	s_waitcnt vmcnt(0)
	v_subrev_u32_e32 v1, s34, v1
	v_cmp_lt_i32_e32 vcc, v11, v1
	v_mov_b32_e32 v12, v6
	s_and_saveexec_b64 s[18:19], vcc
	s_cbranch_execz .LBB4_96
; %bb.91:                               ;   in Loop: Header=BB4_88 Depth=2
	s_mov_b64 s[20:21], 0
	v_mov_b32_e32 v10, v6
	s_branch .LBB4_93
.LBB4_92:                               ;   in Loop: Header=BB4_93 Depth=3
	s_or_b64 exec, exec, s[22:23]
	v_cmp_ge_i32_e32 vcc, v11, v1
	s_or_b64 s[20:21], vcc, s[20:21]
	v_mov_b32_e32 v10, v12
	s_andn2_b64 exec, exec, s[20:21]
	s_cbranch_execz .LBB4_95
.LBB4_93:                               ;   Parent Loop BB4_13 Depth=1
                                        ;     Parent Loop BB4_88 Depth=2
                                        ; =>    This Inner Loop Header: Depth=3
	v_add_u32_e32 v12, 64, v10
	v_cmp_gt_i32_e32 vcc, s35, v12
	v_mov_b32_e32 v11, s43
	s_and_saveexec_b64 s[22:23], vcc
	s_cbranch_execz .LBB4_92
; %bb.94:                               ;   in Loop: Header=BB4_93 Depth=3
	v_ashrrev_i32_e32 v11, 31, v10
	v_lshlrev_b64 v[10:11], 2, v[10:11]
	v_mov_b32_e32 v13, s73
	v_add_co_u32_e32 v10, vcc, s72, v10
	v_addc_co_u32_e32 v11, vcc, v13, v11, vcc
	global_load_dword v10, v[10:11], off
	s_waitcnt vmcnt(0)
	v_subrev_u32_e32 v11, s34, v10
	s_branch .LBB4_92
.LBB4_95:                               ;   in Loop: Header=BB4_88 Depth=2
	s_or_b64 exec, exec, s[20:21]
.LBB4_96:                               ;   in Loop: Header=BB4_88 Depth=2
	s_or_b64 exec, exec, s[18:19]
	v_cmp_eq_u32_e32 vcc, v11, v1
	s_cbranch_vccz .LBB4_87
; %bb.97:                               ;   in Loop: Header=BB4_88 Depth=2
	s_ff1_i32_b64 s17, vcc
	v_and_or_b32 v1, v34, 64, s17
	v_lshlrev_b32_e32 v1, 2, v1
	ds_bpermute_b32 v36, v1, v12
	s_and_saveexec_b64 s[18:19], s[2:3]
	s_xor_b64 s[18:19], exec, s[18:19]
	s_cbranch_execz .LBB4_99
; %bb.98:                               ;   in Loop: Header=BB4_88 Depth=2
	s_waitcnt lgkmcnt(0)
                                        ; implicit-def: $vgpr36
.LBB4_99:                               ;   in Loop: Header=BB4_88 Depth=2
	s_andn2_saveexec_b64 s[18:19], s[18:19]
	s_cbranch_execz .LBB4_86
; %bb.100:                              ;   in Loop: Header=BB4_88 Depth=2
	s_mul_i32 s17, s16, s33
	s_mov_b32 s55, s17
	s_mov_b64 s[20:21], 0
	v_mov_b32_e32 v37, v21
	v_mov_b32_e32 v38, v35
	;; [unrolled: 1-line block ×4, first 2 shown]
	s_branch .LBB4_102
.LBB4_101:                              ;   in Loop: Header=BB4_102 Depth=3
	s_or_b64 exec, exec, s[22:23]
	v_add_u32_e32 v10, 32, v10
	v_cmp_le_i32_e32 vcc, s33, v10
	v_add_u32_e32 v39, 0x80, v39
	v_add_u32_e32 v38, s75, v38
	s_or_b64 s[20:21], vcc, s[20:21]
	v_add_u32_e32 v37, 0x80, v37
	s_andn2_b64 exec, exec, s[20:21]
	s_cbranch_execz .LBB4_116
.LBB4_102:                              ;   Parent Loop BB4_13 Depth=1
                                        ;     Parent Loop BB4_88 Depth=2
                                        ; =>    This Loop Header: Depth=3
                                        ;         Child Loop BB4_105 Depth 4
                                        ;         Child Loop BB4_112 Depth 4
	s_and_saveexec_b64 s[22:23], s[4:5]
	s_cbranch_execz .LBB4_101
; %bb.103:                              ;   in Loop: Header=BB4_102 Depth=3
	s_mov_b64 s[62:63], -1
	v_mov_b32_e32 v1, v4
	v_mov_b32_e32 v11, v26
	s_and_saveexec_b64 s[60:61], s[12:13]
	s_cbranch_execz .LBB4_109
; %bb.104:                              ;   in Loop: Header=BB4_102 Depth=3
	v_add_u32_e32 v1, s17, v10
	v_mul_lo_u32 v12, v1, s33
	v_mov_b32_e32 v11, v10
	v_mov_b32_e32 v1, v12
	s_mov_b64 s[62:63], 0
	v_mov_b32_e32 v13, v22
	v_mov_b32_e32 v40, v39
	v_pk_mov_b32 v[14:15], v[4:5], v[4:5] op_sel:[0,1]
.LBB4_105:                              ;   Parent Loop BB4_13 Depth=1
                                        ;     Parent Loop BB4_88 Depth=2
                                        ;       Parent Loop BB4_102 Depth=3
                                        ; =>      This Inner Loop Header: Depth=4
	v_add_u32_e32 v41, s17, v14
	v_add_u32_e32 v47, v14, v12
	v_mad_u64_u32 v[44:45], s[64:65], v41, s33, v[10:11]
	v_add_u32_e32 v43, s55, v15
	v_mov_b32_e32 v42, v11
	v_cndmask_b32_e64 v44, v47, v44, s[6:7]
	v_add_u32_e32 v46, v15, v1
	v_mad_u64_u32 v[42:43], s[64:65], v43, s49, v[42:43]
	v_ashrrev_i32_e32 v45, 31, v44
	v_cndmask_b32_e64 v42, v46, v42, s[6:7]
	v_lshlrev_b64 v[44:45], 2, v[44:45]
	v_mov_b32_e32 v48, s29
	v_ashrrev_i32_e32 v43, 31, v42
	v_add_co_u32_e32 v44, vcc, s28, v44
	v_lshlrev_b64 v[42:43], 2, v[42:43]
	v_addc_co_u32_e32 v45, vcc, v48, v45, vcc
	v_mov_b32_e32 v49, s29
	v_add_co_u32_e32 v42, vcc, s28, v42
	v_addc_co_u32_e32 v43, vcc, v49, v43, vcc
	global_load_dword v41, v[44:45], off
	s_nop 0
	global_load_dword v42, v[42:43], off
	v_add_u32_e32 v13, -2, v13
	v_cmp_eq_u32_e32 vcc, 0, v13
	v_add_u32_e32 v15, 4, v15
	v_add_u32_e32 v14, 4, v14
	s_or_b64 s[62:63], vcc, s[62:63]
	s_waitcnt vmcnt(0)
	ds_write2_b32 v40, v41, v42 offset1:66
	v_add_u32_e32 v40, 0x210, v40
	s_andn2_b64 exec, exec, s[62:63]
	s_cbranch_execnz .LBB4_105
; %bb.106:                              ;   in Loop: Header=BB4_102 Depth=3
	s_or_b64 exec, exec, s[62:63]
	s_mov_b64 s[62:63], 0
                                        ; implicit-def: $vgpr11
	s_and_saveexec_b64 s[64:65], s[14:15]
	s_xor_b64 s[64:65], exec, s[64:65]
; %bb.107:                              ;   in Loop: Header=BB4_102 Depth=3
	s_mov_b64 s[62:63], exec
	v_mul_lo_u32 v11, v23, s51
; %bb.108:                              ;   in Loop: Header=BB4_102 Depth=3
	s_or_b64 exec, exec, s[64:65]
	s_orn2_b64 s[62:63], s[62:63], exec
	v_mov_b32_e32 v1, v23
.LBB4_109:                              ;   in Loop: Header=BB4_102 Depth=3
	s_or_b64 exec, exec, s[60:61]
	s_and_b64 exec, exec, s[62:63]
	s_cbranch_execz .LBB4_101
; %bb.110:                              ;   in Loop: Header=BB4_102 Depth=3
	v_add_u32_e32 v11, v37, v11
	s_mov_b64 s[60:61], 0
	s_branch .LBB4_112
.LBB4_111:                              ;   in Loop: Header=BB4_112 Depth=4
	v_ashrrev_i32_e32 v13, 31, v12
	v_lshlrev_b64 v[12:13], 2, v[12:13]
	v_mov_b32_e32 v14, s29
	v_add_co_u32_e32 v12, vcc, s28, v12
	v_addc_co_u32_e32 v13, vcc, v14, v13, vcc
	global_load_dword v12, v[12:13], off
	v_add_u32_e32 v1, 2, v1
	v_cmp_le_i32_e32 vcc, s33, v1
	s_or_b64 s[60:61], vcc, s[60:61]
	s_waitcnt vmcnt(0)
	ds_write_b32 v11, v12
	v_add_u32_e32 v11, 0x108, v11
	s_andn2_b64 exec, exec, s[60:61]
	s_cbranch_execz .LBB4_101
.LBB4_112:                              ;   Parent Loop BB4_13 Depth=1
                                        ;     Parent Loop BB4_88 Depth=2
                                        ;       Parent Loop BB4_102 Depth=3
                                        ; =>      This Inner Loop Header: Depth=4
	s_andn2_b64 vcc, exec, s[56:57]
	s_cbranch_vccnz .LBB4_114
; %bb.113:                              ;   in Loop: Header=BB4_112 Depth=4
	v_add_u32_e32 v12, v38, v1
	s_cbranch_execnz .LBB4_111
	s_branch .LBB4_115
.LBB4_114:                              ;   in Loop: Header=BB4_112 Depth=4
                                        ; implicit-def: $vgpr12
.LBB4_115:                              ;   in Loop: Header=BB4_112 Depth=4
	v_add_u32_e32 v12, s17, v1
	v_mad_u64_u32 v[12:13], s[62:63], v12, s33, v[10:11]
	s_branch .LBB4_111
.LBB4_116:                              ;   in Loop: Header=BB4_88 Depth=2
	s_or_b64 exec, exec, s[20:21]
	s_waitcnt lgkmcnt(0)
	v_mul_lo_u32 v1, v36, s33
	s_mov_b64 s[20:21], 0
	v_mov_b32_e32 v11, v24
	v_mov_b32_e32 v10, v18
	s_branch .LBB4_118
.LBB4_117:                              ;   in Loop: Header=BB4_118 Depth=3
	s_or_b64 exec, exec, s[22:23]
	v_add_u32_e32 v10, 32, v10
	v_cmp_le_i32_e32 vcc, s33, v10
	s_or_b64 s[20:21], vcc, s[20:21]
	v_add_u32_e32 v11, 0x80, v11
	s_andn2_b64 exec, exec, s[20:21]
	s_cbranch_execz .LBB4_85
.LBB4_118:                              ;   Parent Loop BB4_13 Depth=1
                                        ;     Parent Loop BB4_88 Depth=2
                                        ; =>    This Loop Header: Depth=3
                                        ;         Child Loop BB4_121 Depth 4
                                        ;           Child Loop BB4_122 Depth 5
	s_and_saveexec_b64 s[22:23], s[4:5]
	s_cbranch_execz .LBB4_117
; %bb.119:                              ;   in Loop: Header=BB4_118 Depth=3
	v_add_u32_e32 v12, v10, v1
	v_mul_lo_u32 v14, v12, s33
	s_mov_b64 s[60:61], 0
	v_mov_b32_e32 v15, v26
	v_mov_b32_e32 v36, v4
	s_branch .LBB4_121
.LBB4_120:                              ;   in Loop: Header=BB4_121 Depth=4
	v_ashrrev_i32_e32 v13, 31, v12
	v_lshlrev_b64 v[12:13], 2, v[12:13]
	v_mov_b32_e32 v38, s29
	v_add_co_u32_e32 v12, vcc, s28, v12
	v_addc_co_u32_e32 v13, vcc, v38, v13, vcc
	global_load_dword v38, v[12:13], off
	v_add_u32_e32 v36, 2, v36
	v_cmp_le_i32_e32 vcc, s33, v36
	s_or_b64 s[60:61], vcc, s[60:61]
	v_add_u32_e32 v15, 0x108, v15
	s_waitcnt vmcnt(0)
	v_sub_f32_e32 v37, v38, v37
	global_store_dword v[12:13], v37, off
	s_andn2_b64 exec, exec, s[60:61]
	s_cbranch_execz .LBB4_117
.LBB4_121:                              ;   Parent Loop BB4_13 Depth=1
                                        ;     Parent Loop BB4_88 Depth=2
                                        ;       Parent Loop BB4_118 Depth=3
                                        ; =>      This Loop Header: Depth=4
                                        ;           Child Loop BB4_122 Depth 5
	v_mov_b32_e32 v37, 0
	v_mov_b32_e32 v12, v11
	v_mov_b32_e32 v13, v15
	s_mov_b32 s17, s33
.LBB4_122:                              ;   Parent Loop BB4_13 Depth=1
                                        ;     Parent Loop BB4_88 Depth=2
                                        ;       Parent Loop BB4_118 Depth=3
                                        ;         Parent Loop BB4_121 Depth=4
                                        ; =>        This Inner Loop Header: Depth=5
	ds_read_b32 v38, v12
	ds_read_b32 v39, v13
	s_add_i32 s17, s17, -1
	v_add_u32_e32 v13, 4, v13
	v_add_u32_e32 v12, 0x84, v12
	s_cmp_eq_u32 s17, 0
	s_waitcnt lgkmcnt(0)
	v_fmac_f32_e32 v37, v38, v39
	s_cbranch_scc0 .LBB4_122
; %bb.123:                              ;   in Loop: Header=BB4_121 Depth=4
	s_and_b64 vcc, exec, s[56:57]
	s_cbranch_vccz .LBB4_125
; %bb.124:                              ;   in Loop: Header=BB4_121 Depth=4
	v_add_u32_e32 v12, v36, v14
	s_cbranch_execnz .LBB4_120
	s_branch .LBB4_126
.LBB4_125:                              ;   in Loop: Header=BB4_121 Depth=4
                                        ; implicit-def: $vgpr12
.LBB4_126:                              ;   in Loop: Header=BB4_121 Depth=4
	v_add_u32_e32 v12, v36, v1
	v_mad_u64_u32 v[12:13], s[62:63], v12, s33, v[10:11]
	s_branch .LBB4_120
.LBB4_127:
	s_ashr_i32 s49, s48, 31
	s_lshl_b64 s[0:1], s[48:49], 2
	s_add_u32 s0, s26, s0
	s_addc_u32 s1, s27, s1
	v_mov_b32_e32 v1, 0
	global_load_dword v1, v1, s[0:1]
	s_waitcnt vmcnt(0)
	v_subrev_u32_e32 v1, s34, v1
	v_cmp_ne_u32_e32 vcc, s42, v1
	s_cbranch_vccnz .LBB4_196
; %bb.128:
	v_and_b32_e32 v4, 0x3ff, v0
	v_cmp_gt_i32_e64 s[0:1], s33, v4
	v_lshlrev_b32_e32 v1, 2, v4
	s_and_saveexec_b64 s[16:17], s[0:1]
	s_cbranch_execz .LBB4_151
; %bb.129:
	v_bfe_u32 v6, v0, 10, 10
	v_add_u32_e32 v7, 2, v6
	v_max_i32_e32 v5, s33, v7
	v_xad_u32 v5, v6, -1, v5
	v_lshrrev_b32_e32 v8, 1, v5
	v_add_u32_e32 v10, 1, v8
	v_add_u32_e32 v8, -1, v8
	s_cmp_eq_u32 s50, 0
	s_mul_i32 s30, s48, s33
	v_lshrrev_b32_e32 v9, 1, v8
	s_cselect_b64 s[14:15], -1, 0
	v_add_u32_e32 v11, 1, v9
	v_and_b32_e32 v13, -2, v10
	v_cmp_lt_u32_e64 s[8:9], 5, v8
	v_add_u32_e32 v8, s30, v4
	s_cmp_lg_u32 s50, 0
	v_cmp_lt_u32_e64 s[6:7], 1, v5
	v_lshl_add_u32 v5, v13, 1, v6
	v_and_b32_e32 v9, 3, v11
	s_movk_i32 s20, 0x84
	v_lshlrev_b32_e32 v14, 2, v4
	v_mul_lo_u32 v18, s33, v8
	v_cndmask_b32_e64 v8, 0, 1, s[14:15]
	v_cmp_gt_u32_e64 s[2:3], s33, v6
	s_cselect_b64 s[4:5], -1, 0
	s_mov_b32 s31, s30
	s_mov_b32 s43, s33
	v_and_b32_e32 v12, -4, v11
	v_cmp_ne_u32_e64 s[10:11], 0, v9
	v_cmp_ne_u32_e64 s[12:13], v10, v13
	v_mul_u32_u24_e32 v13, 0x84, v6
	v_mad_u32_u24 v15, v6, s20, v14
	s_lshl_b32 s49, s33, 5
	s_mov_b64 s[18:19], 0
	s_movk_i32 s51, 0x108
	v_mul_lo_u32 v19, v5, s20
	v_mov_b32_e32 v20, s29
	v_cmp_ne_u32_e64 s[14:15], 1, v8
	v_mov_b32_e32 v8, v4
	s_branch .LBB4_131
.LBB4_130:                              ;   in Loop: Header=BB4_131 Depth=1
	s_or_b64 exec, exec, s[20:21]
	v_add_u32_e32 v8, 32, v8
	v_cmp_le_i32_e32 vcc, s33, v8
	v_add_u32_e32 v15, 0x80, v15
	v_add_u32_e32 v18, s49, v18
	s_or_b64 s[18:19], vcc, s[18:19]
	v_add_u32_e32 v14, 0x80, v14
	s_andn2_b64 exec, exec, s[18:19]
	s_cbranch_execz .LBB4_151
.LBB4_131:                              ; =>This Loop Header: Depth=1
                                        ;     Child Loop BB4_135 Depth 2
                                        ;     Child Loop BB4_139 Depth 2
	;; [unrolled: 1-line block ×3, first 2 shown]
	s_and_saveexec_b64 s[20:21], s[2:3]
	s_cbranch_execz .LBB4_130
; %bb.132:                              ;   in Loop: Header=BB4_131 Depth=1
	s_mov_b64 s[24:25], -1
	v_mov_b32_e32 v21, v6
	v_mov_b32_e32 v10, v13
	s_and_saveexec_b64 s[22:23], s[6:7]
	s_cbranch_execz .LBB4_143
; %bb.133:                              ;   in Loop: Header=BB4_131 Depth=1
	v_add_u32_e32 v10, s30, v8
	v_mul_lo_u32 v21, v10, s33
	v_mov_b32_e32 v24, 0
	v_pk_mov_b32 v[10:11], v[6:7], v[6:7] op_sel:[0,1]
	s_and_saveexec_b64 s[24:25], s[8:9]
	s_cbranch_execz .LBB4_137
; %bb.134:                              ;   in Loop: Header=BB4_131 Depth=1
	s_mov_b32 s54, 0
	s_mov_b64 s[26:27], 0
	v_mov_b32_e32 v22, v12
	v_mov_b32_e32 v23, v15
	v_pk_mov_b32 v[10:11], v[6:7], v[6:7] op_sel:[0,1]
.LBB4_135:                              ;   Parent Loop BB4_131 Depth=1
                                        ; =>  This Inner Loop Header: Depth=2
	v_add_u32_e32 v26, s30, v10
	v_add_u32_e32 v24, s31, v11
	v_add_u32_e32 v29, v10, v21
	v_add_u32_e32 v30, 4, v11
	v_mad_u64_u32 v[26:27], s[56:57], v26, s33, v[8:9]
	v_add_u32_e32 v28, v11, v21
	v_mad_u64_u32 v[24:25], s[56:57], v24, s43, v[8:9]
	v_add_u32_e32 v27, s31, v30
	v_cndmask_b32_e64 v26, v29, v26, s[4:5]
	v_add_u32_e32 v31, 4, v10
	v_cndmask_b32_e64 v24, v28, v24, s[4:5]
	v_mad_u64_u32 v[28:29], s[56:57], v27, s43, v[8:9]
	v_ashrrev_i32_e32 v27, 31, v26
	v_add_u32_e32 v25, s30, v31
	v_lshlrev_b64 v[26:27], 2, v[26:27]
	v_add_u32_e32 v40, v30, v21
	v_add_u32_e32 v41, v31, v21
	v_mad_u64_u32 v[30:31], s[56:57], v25, s33, v[8:9]
	v_ashrrev_i32_e32 v25, 31, v24
	v_add_co_u32_e32 v26, vcc, s28, v26
	v_cndmask_b32_e64 v30, v41, v30, s[4:5]
	v_lshlrev_b64 v[24:25], 2, v[24:25]
	v_addc_co_u32_e32 v27, vcc, v20, v27, vcc
	v_add_u32_e32 v33, 8, v10
	v_ashrrev_i32_e32 v31, 31, v30
	v_add_co_u32_e32 v24, vcc, s28, v24
	v_add_u32_e32 v34, 12, v11
	v_add_u32_e32 v35, 12, v10
	;; [unrolled: 1-line block ×3, first 2 shown]
	v_cndmask_b32_e64 v28, v40, v28, s[4:5]
	v_addc_co_u32_e32 v25, vcc, v20, v25, vcc
	v_lshlrev_b64 v[30:31], 2, v[30:31]
	v_add_u32_e32 v32, 8, v11
	v_add_u32_e32 v43, v33, v21
	;; [unrolled: 1-line block ×6, first 2 shown]
	v_mad_u64_u32 v[34:35], s[56:57], v36, s33, v[8:9]
	v_ashrrev_i32_e32 v29, 31, v28
	v_add_co_u32_e32 v30, vcc, s28, v30
	v_add_u32_e32 v37, s31, v32
	v_cndmask_b32_e64 v34, v43, v34, s[4:5]
	v_lshlrev_b64 v[28:29], 2, v[28:29]
	v_addc_co_u32_e32 v31, vcc, v20, v31, vcc
	v_add_u32_e32 v42, v32, v21
	v_mad_u64_u32 v[32:33], s[56:57], v37, s43, v[8:9]
	v_ashrrev_i32_e32 v35, 31, v34
	v_add_co_u32_e32 v28, vcc, s28, v28
	v_cndmask_b32_e64 v32, v42, v32, s[4:5]
	v_lshlrev_b64 v[34:35], 2, v[34:35]
	v_addc_co_u32_e32 v29, vcc, v20, v29, vcc
	v_mad_u64_u32 v[36:37], s[56:57], v39, s43, v[8:9]
	v_mad_u64_u32 v[38:39], s[56:57], v38, s33, v[8:9]
	v_ashrrev_i32_e32 v33, 31, v32
	v_add_co_u32_e32 v34, vcc, s28, v34
	v_cndmask_b32_e64 v38, v45, v38, s[4:5]
	v_lshlrev_b64 v[32:33], 2, v[32:33]
	v_addc_co_u32_e32 v35, vcc, v20, v35, vcc
	v_ashrrev_i32_e32 v39, 31, v38
	v_add_co_u32_e32 v32, vcc, s28, v32
	v_cndmask_b32_e64 v36, v44, v36, s[4:5]
	v_lshlrev_b64 v[38:39], 2, v[38:39]
	v_addc_co_u32_e32 v33, vcc, v20, v33, vcc
	v_ashrrev_i32_e32 v37, 31, v36
	v_add_co_u32_e32 v38, vcc, s28, v38
	v_lshlrev_b64 v[36:37], 2, v[36:37]
	v_addc_co_u32_e32 v39, vcc, v20, v39, vcc
	v_add_co_u32_e32 v36, vcc, s28, v36
	v_addc_co_u32_e32 v37, vcc, v20, v37, vcc
	global_load_dword v26, v[26:27], off
	s_nop 0
	global_load_dword v25, v[24:25], off
	s_nop 0
	;; [unrolled: 2-line block ×4, first 2 shown]
	global_load_dword v29, v[34:35], off
	global_load_dword v30, v[32:33], off
	;; [unrolled: 1-line block ×3, first 2 shown]
	s_nop 0
	global_load_dword v32, v[36:37], off
	v_add_u32_e32 v22, -4, v22
	s_add_i32 s54, s54, 8
	v_cmp_eq_u32_e32 vcc, 0, v22
	v_add_u32_e32 v33, 0x400, v23
	v_add_u32_e32 v11, 16, v11
	;; [unrolled: 1-line block ×3, first 2 shown]
	v_mov_b32_e32 v24, s54
	s_or_b64 s[26:27], vcc, s[26:27]
	s_waitcnt vmcnt(6)
	ds_write2_b32 v23, v26, v25 offset1:66
	s_waitcnt vmcnt(4)
	ds_write2_b32 v23, v27, v28 offset0:132 offset1:198
	s_waitcnt vmcnt(2)
	ds_write2_b32 v33, v29, v30 offset0:8 offset1:74
	;; [unrolled: 2-line block ×3, first 2 shown]
	v_add_u32_e32 v23, 0x840, v23
	s_andn2_b64 exec, exec, s[26:27]
	s_cbranch_execnz .LBB4_135
; %bb.136:                              ;   in Loop: Header=BB4_131 Depth=1
	s_or_b64 exec, exec, s[26:27]
.LBB4_137:                              ;   in Loop: Header=BB4_131 Depth=1
	s_or_b64 exec, exec, s[24:25]
	s_and_saveexec_b64 s[24:25], s[10:11]
	s_cbranch_execz .LBB4_140
; %bb.138:                              ;   in Loop: Header=BB4_131 Depth=1
	v_mul_lo_u32 v22, v24, s51
	s_mov_b64 s[26:27], 0
	v_mov_b32_e32 v23, v9
.LBB4_139:                              ;   Parent Loop BB4_131 Depth=1
                                        ; =>  This Inner Loop Header: Depth=2
	v_add_u32_e32 v26, s30, v10
	v_add_u32_e32 v29, v10, v21
	v_mad_u64_u32 v[26:27], s[54:55], v26, s33, v[8:9]
	v_add_u32_e32 v24, s31, v11
	v_cndmask_b32_e64 v26, v29, v26, s[4:5]
	v_add_u32_e32 v28, v11, v21
	v_mad_u64_u32 v[24:25], s[54:55], v24, s43, v[8:9]
	v_ashrrev_i32_e32 v27, 31, v26
	v_cndmask_b32_e64 v24, v28, v24, s[4:5]
	v_lshlrev_b64 v[26:27], 2, v[26:27]
	v_ashrrev_i32_e32 v25, 31, v24
	v_add_co_u32_e32 v26, vcc, s28, v26
	v_lshlrev_b64 v[24:25], 2, v[24:25]
	v_addc_co_u32_e32 v27, vcc, v20, v27, vcc
	v_add_co_u32_e32 v24, vcc, s28, v24
	v_addc_co_u32_e32 v25, vcc, v20, v25, vcc
	global_load_dword v26, v[26:27], off
	s_nop 0
	global_load_dword v24, v[24:25], off
	v_add_u32_e32 v23, -1, v23
	v_cmp_eq_u32_e32 vcc, 0, v23
	v_add_u32_e32 v25, v15, v22
	v_add_u32_e32 v11, 4, v11
	;; [unrolled: 1-line block ×4, first 2 shown]
	s_or_b64 s[26:27], vcc, s[26:27]
	s_waitcnt vmcnt(0)
	ds_write2_b32 v25, v26, v24 offset1:66
	s_andn2_b64 exec, exec, s[26:27]
	s_cbranch_execnz .LBB4_139
.LBB4_140:                              ;   in Loop: Header=BB4_131 Depth=1
	s_or_b64 exec, exec, s[24:25]
	s_mov_b64 s[24:25], 0
	s_and_saveexec_b64 s[26:27], s[12:13]
	s_xor_b64 s[26:27], exec, s[26:27]
; %bb.141:                              ;   in Loop: Header=BB4_131 Depth=1
	s_mov_b64 s[24:25], exec
; %bb.142:                              ;   in Loop: Header=BB4_131 Depth=1
	s_or_b64 exec, exec, s[26:27]
	s_orn2_b64 s[24:25], s[24:25], exec
	v_mov_b32_e32 v21, v5
	v_mov_b32_e32 v10, v19
.LBB4_143:                              ;   in Loop: Header=BB4_131 Depth=1
	s_or_b64 exec, exec, s[22:23]
	s_and_b64 exec, exec, s[24:25]
	s_cbranch_execz .LBB4_130
; %bb.144:                              ;   in Loop: Header=BB4_131 Depth=1
	v_add_u32_e32 v22, v14, v10
	s_mov_b64 s[22:23], 0
	s_branch .LBB4_146
.LBB4_145:                              ;   in Loop: Header=BB4_146 Depth=2
	v_ashrrev_i32_e32 v11, 31, v10
	v_lshlrev_b64 v[10:11], 2, v[10:11]
	v_add_co_u32_e32 v10, vcc, s28, v10
	v_addc_co_u32_e32 v11, vcc, v20, v11, vcc
	global_load_dword v10, v[10:11], off
	v_add_u32_e32 v21, 2, v21
	v_cmp_le_i32_e32 vcc, s33, v21
	s_or_b64 s[22:23], vcc, s[22:23]
	s_waitcnt vmcnt(0)
	ds_write_b32 v22, v10
	v_add_u32_e32 v22, 0x108, v22
	s_andn2_b64 exec, exec, s[22:23]
	s_cbranch_execz .LBB4_130
.LBB4_146:                              ;   Parent Loop BB4_131 Depth=1
                                        ; =>  This Inner Loop Header: Depth=2
	s_and_b64 vcc, exec, s[14:15]
	s_cbranch_vccnz .LBB4_148
; %bb.147:                              ;   in Loop: Header=BB4_146 Depth=2
	v_add_u32_e32 v10, v18, v21
	s_cbranch_execnz .LBB4_145
	s_branch .LBB4_149
.LBB4_148:                              ;   in Loop: Header=BB4_146 Depth=2
                                        ; implicit-def: $vgpr10
.LBB4_149:                              ;   in Loop: Header=BB4_146 Depth=2
	v_add_u32_e32 v10, s30, v21
	v_mad_u64_u32 v[10:11], s[24:25], v10, s33, v[8:9]
	s_branch .LBB4_145
.LBB4_150:
	s_mov_b64 s[46:47], -1
	s_branch .LBB4_243
.LBB4_151:
	s_or_b64 exec, exec, s[16:17]
	s_cmp_lt_i32 s33, 1
	s_waitcnt lgkmcnt(0)
	s_cbranch_scc1 .LBB4_173
; %bb.152:
	s_cmp_eq_u64 s[36:37], 8
	v_cvt_f64_f32_e32 v[6:7], v17
	s_cselect_b64 vcc, -1, 0
	v_bfe_u32 v5, v0, 10, 10
	v_cndmask_b32_e32 v2, v6, v2, vcc
	v_or_b32_e32 v6, v4, v5
	s_movk_i32 s6, 0x84
	v_cndmask_b32_e64 v8, 0, 1, s[52:53]
	v_cndmask_b32_e32 v3, v7, v3, vcc
	s_mov_b32 s18, 0
	v_cmp_eq_u32_e64 s[2:3], 0, v6
	v_cmp_eq_u32_e64 s[4:5], 0, v5
	v_lshlrev_b32_e32 v6, 2, v4
	v_mad_u32_u24 v7, v5, s6, s6
	v_cmp_ne_u32_e64 s[6:7], 1, v8
.LBB4_153:                              ; =>This Loop Header: Depth=1
                                        ;     Child Loop BB4_165 Depth 2
                                        ;       Child Loop BB4_169 Depth 3
	s_lshl_b32 s8, s18, 2
	s_mul_i32 s19, s18, 0x84
	s_add_i32 s12, s19, s8
	v_mov_b32_e32 v8, s12
	s_waitcnt lgkmcnt(0)
	ds_read_b32 v9, v8
	s_and_b64 vcc, exec, s[6:7]
	s_mov_b64 s[8:9], 0
	s_cbranch_vccnz .LBB4_157
; %bb.154:                              ;   in Loop: Header=BB4_153 Depth=1
	s_waitcnt lgkmcnt(0)
	v_cmp_gt_f32_e32 vcc, 0, v9
	v_cndmask_b32_e64 v8, v9, -v9, vcc
	v_cvt_f64_f32_e32 v[10:11], v8
	v_cmp_ge_f64_e32 vcc, v[2:3], v[10:11]
	v_cndmask_b32_e32 v8, v9, v16, vcc
	s_and_saveexec_b64 s[10:11], s[2:3]
	s_cbranch_execz .LBB4_156
; %bb.155:                              ;   in Loop: Header=BB4_153 Depth=1
	v_mov_b32_e32 v10, s12
	ds_write_b32 v10, v8
.LBB4_156:                              ;   in Loop: Header=BB4_153 Depth=1
	s_or_b64 exec, exec, s[10:11]
	s_mov_b64 s[10:11], -1
	s_cbranch_execz .LBB4_158
	s_branch .LBB4_159
.LBB4_157:                              ;   in Loop: Header=BB4_153 Depth=1
	s_mov_b64 s[10:11], 0
                                        ; implicit-def: $vgpr8
.LBB4_158:                              ;   in Loop: Header=BB4_153 Depth=1
	s_waitcnt lgkmcnt(0)
	v_cmp_neq_f32_e64 s[10:11], 0, v9
	s_mov_b64 s[8:9], -1
	v_mov_b32_e32 v8, v9
.LBB4_159:                              ;   in Loop: Header=BB4_153 Depth=1
	s_andn2_b64 vcc, exec, s[10:11]
                                        ; implicit-def: $sgpr20
	s_cbranch_vccz .LBB4_162
; %bb.160:                              ;   in Loop: Header=BB4_153 Depth=1
	s_andn2_b64 vcc, exec, s[8:9]
	s_cbranch_vccz .LBB4_171
.LBB4_161:                              ;   in Loop: Header=BB4_153 Depth=1
	s_cmp_eq_u32 s20, s33
	s_cbranch_scc0 .LBB4_172
	s_branch .LBB4_173
.LBB4_162:                              ;   in Loop: Header=BB4_153 Depth=1
	s_add_i32 s20, s18, 1
	s_waitcnt lgkmcnt(0)
	v_add_u32_e32 v9, s20, v4
	v_cmp_gt_i32_e32 vcc, s33, v9
	s_and_saveexec_b64 s[10:11], vcc
	s_cbranch_execz .LBB4_170
; %bb.163:                              ;   in Loop: Header=BB4_153 Depth=1
	v_add_u32_e32 v10, s20, v5
	s_mul_i32 s12, s18, 0x88
	v_cmp_gt_i32_e64 s[8:9], s33, v10
	v_add_u32_e32 v11, s12, v7
	s_mov_b64 s[12:13], 0
	v_mov_b32_e32 v12, v6
	s_branch .LBB4_165
.LBB4_164:                              ;   in Loop: Header=BB4_165 Depth=2
	s_or_b64 exec, exec, s[14:15]
	v_add_u32_e32 v9, 32, v9
	v_cmp_le_i32_e32 vcc, s33, v9
	s_or_b64 s[12:13], vcc, s[12:13]
	v_add_u32_e32 v12, 0x80, v12
	s_andn2_b64 exec, exec, s[12:13]
	s_cbranch_execz .LBB4_170
.LBB4_165:                              ;   Parent Loop BB4_153 Depth=1
                                        ; =>  This Loop Header: Depth=2
                                        ;       Child Loop BB4_169 Depth 3
	v_lshl_add_u32 v14, v9, 2, s19
	ds_read_b32 v13, v14
	s_waitcnt lgkmcnt(0)
	v_div_scale_f32 v15, s[14:15], v8, v8, v13
	v_rcp_f32_e32 v17, v15
	v_div_scale_f32 v18, vcc, v13, v8, v13
	v_fma_f32 v19, -v15, v17, 1.0
	v_fmac_f32_e32 v17, v19, v17
	v_mul_f32_e32 v19, v18, v17
	v_fma_f32 v20, -v15, v19, v18
	v_fmac_f32_e32 v19, v20, v17
	v_fma_f32 v15, -v15, v19, v18
	v_div_fmas_f32 v15, v15, v17, v19
	v_div_fixup_f32 v13, v15, v8, v13
	s_and_saveexec_b64 s[14:15], s[4:5]
	s_cbranch_execz .LBB4_167
; %bb.166:                              ;   in Loop: Header=BB4_165 Depth=2
	ds_write_b32 v14, v13
.LBB4_167:                              ;   in Loop: Header=BB4_165 Depth=2
	s_or_b64 exec, exec, s[14:15]
	s_and_saveexec_b64 s[14:15], s[8:9]
	s_cbranch_execz .LBB4_164
; %bb.168:                              ;   in Loop: Header=BB4_165 Depth=2
	s_mov_b64 s[16:17], 0
	v_mov_b32_e32 v14, v11
	v_mov_b32_e32 v15, v10
.LBB4_169:                              ;   Parent Loop BB4_153 Depth=1
                                        ;     Parent Loop BB4_165 Depth=2
                                        ; =>    This Inner Loop Header: Depth=3
	v_add_u32_e32 v17, v14, v12
	ds_read_b32 v18, v14
	ds_read_b32 v19, v17 offset:4
	v_add_u32_e32 v15, 2, v15
	v_cmp_le_i32_e32 vcc, s33, v15
	v_add_u32_e32 v14, 0x108, v14
	s_or_b64 s[16:17], vcc, s[16:17]
	s_waitcnt lgkmcnt(0)
	v_fma_f32 v18, -v13, v18, v19
	ds_write_b32 v17, v18 offset:4
	s_andn2_b64 exec, exec, s[16:17]
	s_cbranch_execnz .LBB4_169
	s_branch .LBB4_164
.LBB4_170:                              ;   in Loop: Header=BB4_153 Depth=1
	s_or_b64 exec, exec, s[10:11]
	s_cbranch_execnz .LBB4_161
.LBB4_171:                              ;   in Loop: Header=BB4_153 Depth=1
	s_add_i32 s20, s18, 1
	s_mov_b64 s[46:47], -1
	s_cmp_eq_u32 s20, s33
	s_cbranch_scc1 .LBB4_173
.LBB4_172:                              ;   in Loop: Header=BB4_153 Depth=1
	s_mov_b32 s18, s20
	s_branch .LBB4_153
.LBB4_173:
	s_waitcnt lgkmcnt(0)
	s_and_saveexec_b64 s[14:15], s[0:1]
	s_cbranch_execz .LBB4_195
; %bb.174:
	v_bfe_u32 v2, v0, 10, 10
	v_add_u32_e32 v3, 2, v2
	v_max_i32_e32 v5, s33, v3
	v_xad_u32 v5, v2, -1, v5
	v_lshrrev_b32_e32 v6, 1, v5
	v_add_u32_e32 v7, 1, v6
	v_add_u32_e32 v6, -1, v6
	s_cmp_eq_u32 s50, 0
	s_mul_i32 s26, s48, s33
	v_lshrrev_b32_e32 v8, 1, v6
	s_cselect_b64 s[12:13], -1, 0
	v_add_u32_e32 v9, 1, v8
	v_and_b32_e32 v10, -2, v7
	v_cmp_lt_u32_e64 s[6:7], 5, v6
	v_add_u32_e32 v6, s26, v4
	s_cmp_lg_u32 s50, 0
	v_cmp_lt_u32_e64 s[4:5], 1, v5
	v_lshl_add_u32 v5, v10, 1, v2
	v_and_b32_e32 v8, 3, v9
	s_movk_i32 s18, 0x84
	v_mul_lo_u32 v12, s33, v6
	v_cndmask_b32_e64 v6, 0, 1, s[12:13]
	v_cmp_gt_u32_e64 s[0:1], s33, v2
	s_cselect_b64 s[2:3], -1, 0
	s_mov_b32 s27, s26
	s_mov_b32 s30, s33
	v_and_b32_e32 v9, -4, v9
	v_cmp_ne_u32_e64 s[8:9], 0, v8
	v_cmp_ne_u32_e64 s[10:11], v7, v10
	v_mul_u32_u24_e32 v10, 0x84, v2
	v_mad_u32_u24 v11, v2, s18, v1
	s_lshl_b32 s31, s33, 5
	s_mov_b64 s[16:17], 0
	s_movk_i32 s36, 0x108
	v_mul_lo_u32 v13, v5, s18
	v_cmp_ne_u32_e64 s[12:13], 1, v6
	v_mov_b32_e32 v14, s29
	s_branch .LBB4_176
.LBB4_175:                              ;   in Loop: Header=BB4_176 Depth=1
	s_or_b64 exec, exec, s[18:19]
	v_add_u32_e32 v4, 32, v4
	v_cmp_le_i32_e32 vcc, s33, v4
	v_add_u32_e32 v11, 0x80, v11
	v_add_u32_e32 v12, s31, v12
	s_or_b64 s[16:17], vcc, s[16:17]
	v_add_u32_e32 v1, 0x80, v1
	s_andn2_b64 exec, exec, s[16:17]
	s_cbranch_execz .LBB4_195
.LBB4_176:                              ; =>This Loop Header: Depth=1
                                        ;     Child Loop BB4_180 Depth 2
                                        ;     Child Loop BB4_184 Depth 2
	;; [unrolled: 1-line block ×3, first 2 shown]
	s_and_saveexec_b64 s[18:19], s[0:1]
	s_cbranch_execz .LBB4_175
; %bb.177:                              ;   in Loop: Header=BB4_176 Depth=1
	s_mov_b64 s[22:23], -1
	v_mov_b32_e32 v15, v2
	v_mov_b32_e32 v6, v10
	s_and_saveexec_b64 s[20:21], s[4:5]
	s_cbranch_execz .LBB4_188
; %bb.178:                              ;   in Loop: Header=BB4_176 Depth=1
	v_add_u32_e32 v6, s26, v4
	v_mul_lo_u32 v15, v6, s33
	v_mov_b32_e32 v18, 0
	v_pk_mov_b32 v[6:7], v[2:3], v[2:3] op_sel:[0,1]
	s_and_saveexec_b64 s[22:23], s[6:7]
	s_cbranch_execz .LBB4_182
; %bb.179:                              ;   in Loop: Header=BB4_176 Depth=1
	s_mov_b32 s37, 0
	s_mov_b64 s[24:25], 0
	v_mov_b32_e32 v16, v9
	v_mov_b32_e32 v17, v11
	v_pk_mov_b32 v[6:7], v[2:3], v[2:3] op_sel:[0,1]
.LBB4_180:                              ;   Parent Loop BB4_176 Depth=1
                                        ; =>  This Inner Loop Header: Depth=2
	v_add_u32_e32 v18, s26, v6
	v_add_u32_e32 v33, v6, v15
	;; [unrolled: 1-line block ×3, first 2 shown]
	v_mad_u64_u32 v[26:27], s[52:53], v18, s33, v[4:5]
	v_add_u32_e32 v19, s27, v7
	v_add_u32_e32 v27, s26, v31
	v_cndmask_b32_e64 v26, v33, v26, s[2:3]
	v_add_u32_e32 v32, v7, v15
	v_add_u32_e32 v28, 4, v7
	;; [unrolled: 1-line block ×3, first 2 shown]
	v_add_u32_e32 v16, -4, v16
	v_mad_u64_u32 v[24:25], s[52:53], v19, s30, v[4:5]
	v_mad_u64_u32 v[38:39], s[52:53], v27, s33, v[4:5]
	v_ashrrev_i32_e32 v27, 31, v26
	ds_read2_b32 v[20:21], v17 offset1:66
	v_add_u32_e32 v30, 8, v7
	v_add_u32_e32 v34, 0x400, v17
	;; [unrolled: 1-line block ×3, first 2 shown]
	s_add_i32 s37, s37, 8
	v_add_u32_e32 v19, s26, v29
	v_add_u32_e32 v25, s27, v28
	v_cmp_eq_u32_e32 vcc, 0, v16
	v_cndmask_b32_e64 v24, v32, v24, s[2:3]
	v_lshlrev_b64 v[26:27], 2, v[26:27]
	v_add_u32_e32 v44, v28, v15
	v_add_u32_e32 v45, v29, v15
	ds_read2_b32 v[28:29], v34 offset0:8 offset1:74
	v_add_u32_e32 v37, s27, v30
	v_add_u32_e32 v46, v30, v15
	;; [unrolled: 1-line block ×3, first 2 shown]
	ds_read2_b32 v[30:31], v34 offset0:140 offset1:206
	v_add_u32_e32 v40, s27, v35
	v_add_u32_e32 v48, v35, v15
	v_mad_u64_u32 v[32:33], s[52:53], v25, s30, v[4:5]
	v_mad_u64_u32 v[34:35], s[52:53], v19, s33, v[4:5]
	s_or_b64 s[24:25], vcc, s[24:25]
	v_ashrrev_i32_e32 v25, 31, v24
	v_add_co_u32_e32 v26, vcc, s28, v26
	v_cndmask_b32_e64 v34, v45, v34, s[2:3]
	v_lshlrev_b64 v[24:25], 2, v[24:25]
	v_addc_co_u32_e32 v27, vcc, v14, v27, vcc
	v_ashrrev_i32_e32 v35, 31, v34
	v_add_co_u32_e32 v24, vcc, s28, v24
	v_cndmask_b32_e64 v32, v44, v32, s[2:3]
	v_addc_co_u32_e32 v25, vcc, v14, v25, vcc
	v_lshlrev_b64 v[34:35], 2, v[34:35]
	ds_read2_b32 v[22:23], v17 offset0:132 offset1:198
	v_ashrrev_i32_e32 v33, 31, v32
	s_waitcnt lgkmcnt(3)
	global_store_dword v[26:27], v20, off
	global_store_dword v[24:25], v21, off
	v_add_co_u32_e32 v20, vcc, s28, v34
	v_add_u32_e32 v36, 12, v6
	v_cndmask_b32_e64 v38, v47, v38, s[2:3]
	v_lshlrev_b64 v[32:33], 2, v[32:33]
	v_addc_co_u32_e32 v21, vcc, v14, v35, vcc
	v_add_u32_e32 v42, s26, v36
	v_add_u32_e32 v49, v36, v15
	v_mad_u64_u32 v[36:37], s[52:53], v37, s30, v[4:5]
	v_ashrrev_i32_e32 v39, 31, v38
	v_add_co_u32_e32 v24, vcc, s28, v32
	v_cndmask_b32_e64 v36, v46, v36, s[2:3]
	v_lshlrev_b64 v[38:39], 2, v[38:39]
	v_addc_co_u32_e32 v25, vcc, v14, v33, vcc
	v_mad_u64_u32 v[42:43], s[52:53], v42, s33, v[4:5]
	v_ashrrev_i32_e32 v37, 31, v36
	v_add_co_u32_e32 v26, vcc, s28, v38
	v_cndmask_b32_e64 v42, v49, v42, s[2:3]
	v_lshlrev_b64 v[36:37], 2, v[36:37]
	v_addc_co_u32_e32 v27, vcc, v14, v39, vcc
	;; [unrolled: 6-line block ×3, first 2 shown]
	v_ashrrev_i32_e32 v41, 31, v40
	v_add_co_u32_e32 v34, vcc, s28, v42
	v_lshlrev_b64 v[40:41], 2, v[40:41]
	v_addc_co_u32_e32 v35, vcc, v14, v43, vcc
	v_add_u32_e32 v7, 16, v7
	v_add_u32_e32 v6, 16, v6
	;; [unrolled: 1-line block ×3, first 2 shown]
	v_mov_b32_e32 v18, s37
	v_add_co_u32_e32 v36, vcc, s28, v40
	v_addc_co_u32_e32 v37, vcc, v14, v41, vcc
	s_waitcnt lgkmcnt(0)
	global_store_dword v[20:21], v22, off
	global_store_dword v[24:25], v23, off
	;; [unrolled: 1-line block ×6, first 2 shown]
	s_andn2_b64 exec, exec, s[24:25]
	s_cbranch_execnz .LBB4_180
; %bb.181:                              ;   in Loop: Header=BB4_176 Depth=1
	s_or_b64 exec, exec, s[24:25]
.LBB4_182:                              ;   in Loop: Header=BB4_176 Depth=1
	s_or_b64 exec, exec, s[22:23]
	s_and_saveexec_b64 s[22:23], s[8:9]
	s_cbranch_execz .LBB4_185
; %bb.183:                              ;   in Loop: Header=BB4_176 Depth=1
	v_mul_lo_u32 v16, v18, s36
	s_mov_b64 s[24:25], 0
	v_mov_b32_e32 v17, v8
.LBB4_184:                              ;   Parent Loop BB4_176 Depth=1
                                        ; =>  This Inner Loop Header: Depth=2
	v_add_u32_e32 v22, s26, v6
	v_add_u32_e32 v25, v6, v15
	v_mad_u64_u32 v[22:23], s[52:53], v22, s33, v[4:5]
	v_add_u32_e32 v18, v11, v16
	v_add_u32_e32 v20, s27, v7
	v_cndmask_b32_e64 v22, v25, v22, s[2:3]
	v_add_u32_e32 v24, v7, v15
	v_add_u32_e32 v17, -1, v17
	ds_read2_b32 v[18:19], v18 offset1:66
	v_mad_u64_u32 v[20:21], s[52:53], v20, s30, v[4:5]
	v_ashrrev_i32_e32 v23, 31, v22
	v_cmp_eq_u32_e32 vcc, 0, v17
	v_cndmask_b32_e64 v20, v24, v20, s[2:3]
	v_lshlrev_b64 v[22:23], 2, v[22:23]
	s_or_b64 s[24:25], vcc, s[24:25]
	v_ashrrev_i32_e32 v21, 31, v20
	v_add_co_u32_e32 v22, vcc, s28, v22
	v_lshlrev_b64 v[20:21], 2, v[20:21]
	v_addc_co_u32_e32 v23, vcc, v14, v23, vcc
	v_add_u32_e32 v7, 4, v7
	v_add_u32_e32 v6, 4, v6
	;; [unrolled: 1-line block ×3, first 2 shown]
	v_add_co_u32_e32 v20, vcc, s28, v20
	v_addc_co_u32_e32 v21, vcc, v14, v21, vcc
	s_waitcnt lgkmcnt(0)
	global_store_dword v[22:23], v18, off
	global_store_dword v[20:21], v19, off
	s_andn2_b64 exec, exec, s[24:25]
	s_cbranch_execnz .LBB4_184
.LBB4_185:                              ;   in Loop: Header=BB4_176 Depth=1
	s_or_b64 exec, exec, s[22:23]
	s_mov_b64 s[22:23], 0
	s_and_saveexec_b64 s[24:25], s[10:11]
	s_xor_b64 s[24:25], exec, s[24:25]
; %bb.186:                              ;   in Loop: Header=BB4_176 Depth=1
	s_mov_b64 s[22:23], exec
; %bb.187:                              ;   in Loop: Header=BB4_176 Depth=1
	s_or_b64 exec, exec, s[24:25]
	s_orn2_b64 s[22:23], s[22:23], exec
	v_mov_b32_e32 v15, v5
	v_mov_b32_e32 v6, v13
.LBB4_188:                              ;   in Loop: Header=BB4_176 Depth=1
	s_or_b64 exec, exec, s[20:21]
	s_and_b64 exec, exec, s[22:23]
	s_cbranch_execz .LBB4_175
; %bb.189:                              ;   in Loop: Header=BB4_176 Depth=1
	v_add_u32_e32 v16, v1, v6
	s_mov_b64 s[20:21], 0
	s_branch .LBB4_191
.LBB4_190:                              ;   in Loop: Header=BB4_191 Depth=2
	v_ashrrev_i32_e32 v7, 31, v6
	v_lshlrev_b64 v[6:7], 2, v[6:7]
	v_add_co_u32_e32 v6, vcc, s28, v6
	v_addc_co_u32_e32 v7, vcc, v14, v7, vcc
	v_add_u32_e32 v15, 2, v15
	v_cmp_le_i32_e32 vcc, s33, v15
	s_or_b64 s[20:21], vcc, s[20:21]
	v_add_u32_e32 v16, 0x108, v16
	s_waitcnt lgkmcnt(0)
	global_store_dword v[6:7], v17, off
	s_andn2_b64 exec, exec, s[20:21]
	s_cbranch_execz .LBB4_175
.LBB4_191:                              ;   Parent Loop BB4_176 Depth=1
                                        ; =>  This Inner Loop Header: Depth=2
	ds_read_b32 v17, v16
	s_and_b64 vcc, exec, s[12:13]
	s_cbranch_vccnz .LBB4_193
; %bb.192:                              ;   in Loop: Header=BB4_191 Depth=2
	v_add_u32_e32 v6, v12, v15
	s_cbranch_execnz .LBB4_190
	s_branch .LBB4_194
.LBB4_193:                              ;   in Loop: Header=BB4_191 Depth=2
                                        ; implicit-def: $vgpr6
.LBB4_194:                              ;   in Loop: Header=BB4_191 Depth=2
	v_add_u32_e32 v6, s26, v15
	v_mad_u64_u32 v[6:7], s[22:23], v6, s33, v[4:5]
	s_branch .LBB4_190
.LBB4_195:
	s_or_b64 exec, exec, s[14:15]
.LBB4_196:
	s_add_i32 s26, s48, 1
	s_cmp_ge_i32 s26, s35
	s_cbranch_scc1 .LBB4_243
; %bb.197:
	v_bfe_u32 v2, v0, 10, 10
	v_xad_u32 v1, v2, -1, s33
	v_lshrrev_b32_e32 v3, 1, v1
	v_and_b32_e32 v10, 0x3ff, v0
	v_add_u32_e32 v4, 1, v3
	v_cmp_lt_u32_e64 s[6:7], 1, v1
	v_mov_b32_e32 v1, 0x1080
	s_mul_i32 s14, s33, s26
	s_cmp_eq_u32 s50, 0
	v_and_b32_e32 v12, -2, v4
	v_lshl_add_u32 v15, v10, 2, v1
	v_add_u32_e32 v1, s14, v10
	s_cselect_b64 s[10:11], -1, 0
	s_cmp_gt_i32 s33, 0
	v_cmp_ne_u32_e64 s[8:9], v4, v12
	v_mul_lo_u32 v17, s33, v1
	v_mul_u32_u24_e32 v1, 0x84, v10
	v_lshlrev_b32_e32 v4, 2, v2
	s_movk_i32 s14, 0x1084
	s_cselect_b64 s[12:13], -1, 0
	v_add3_u32 v18, v4, v1, s14
	v_cndmask_b32_e64 v1, 0, 1, s[10:11]
	s_cmp_lg_u32 s50, 0
	v_lshl_add_u32 v13, v12, 1, v2
	s_movk_i32 s30, 0x84
	v_cmp_ne_u32_e64 s[10:11], 1, v1
	v_cndmask_b32_e64 v1, 0, 1, s[12:13]
	v_cmp_gt_i32_e64 s[0:1], s33, v10
	v_cmp_gt_i32_e64 s[2:3], s33, v2
	s_cselect_b64 s[4:5], -1, 0
	v_add_u32_e32 v11, 1, v2
	v_add_u32_e32 v3, 2, v2
	s_mov_b32 s27, s33
	v_mul_u32_u24_e32 v14, 0x84, v2
	v_mad_u32_u24 v16, v2, s30, v15
	s_mul_i32 s31, s33, s33
	s_lshl_b32 s36, s33, 5
	v_add_u32_e32 v19, 4, v4
	v_mul_lo_u32 v20, v13, s30
	v_cmp_ne_u32_e64 s[12:13], 1, v1
.LBB4_198:                              ; =>This Loop Header: Depth=1
                                        ;     Child Loop BB4_201 Depth 2
                                        ;       Child Loop BB4_204 Depth 3
                                        ;       Child Loop BB4_211 Depth 3
                                        ;     Child Loop BB4_218 Depth 2
                                        ;       Child Loop BB4_221 Depth 3
                                        ;         Child Loop BB4_223 Depth 4
                                        ;     Child Loop BB4_227 Depth 2
                                        ;       Child Loop BB4_230 Depth 3
                                        ;       Child Loop BB4_237 Depth 3
	s_mul_i32 s37, s26, s33
	s_waitcnt lgkmcnt(0)
	s_and_saveexec_b64 s[14:15], s[0:1]
	s_cbranch_execz .LBB4_215
; %bb.199:                              ;   in Loop: Header=BB4_198 Depth=1
	s_mov_b32 s43, s37
	s_mov_b64 s[16:17], 0
	v_mov_b32_e32 v21, v15
	v_mov_b32_e32 v22, v17
	v_mov_b32_e32 v23, v16
	v_mov_b32_e32 v4, v10
	s_branch .LBB4_201
.LBB4_200:                              ;   in Loop: Header=BB4_201 Depth=2
	s_or_b64 exec, exec, s[18:19]
	v_add_u32_e32 v4, 32, v4
	v_cmp_le_i32_e32 vcc, s33, v4
	v_add_u32_e32 v23, 0x80, v23
	v_add_u32_e32 v22, s36, v22
	s_or_b64 s[16:17], vcc, s[16:17]
	v_add_u32_e32 v21, 0x80, v21
	s_andn2_b64 exec, exec, s[16:17]
	s_cbranch_execz .LBB4_215
.LBB4_201:                              ;   Parent Loop BB4_198 Depth=1
                                        ; =>  This Loop Header: Depth=2
                                        ;       Child Loop BB4_204 Depth 3
                                        ;       Child Loop BB4_211 Depth 3
	s_and_saveexec_b64 s[18:19], s[2:3]
	s_cbranch_execz .LBB4_200
; %bb.202:                              ;   in Loop: Header=BB4_201 Depth=2
	s_mov_b64 s[22:23], -1
	v_mov_b32_e32 v1, v2
	v_mov_b32_e32 v5, v14
	s_and_saveexec_b64 s[20:21], s[6:7]
	s_cbranch_execz .LBB4_208
; %bb.203:                              ;   in Loop: Header=BB4_201 Depth=2
	v_add_u32_e32 v1, s37, v4
	v_mul_lo_u32 v6, v1, s33
	v_mov_b32_e32 v5, v4
	v_mov_b32_e32 v1, v6
	s_mov_b64 s[22:23], 0
	v_mov_b32_e32 v7, v12
	v_mov_b32_e32 v24, v23
	v_pk_mov_b32 v[8:9], v[2:3], v[2:3] op_sel:[0,1]
.LBB4_204:                              ;   Parent Loop BB4_198 Depth=1
                                        ;     Parent Loop BB4_201 Depth=2
                                        ; =>    This Inner Loop Header: Depth=3
	v_add_u32_e32 v25, s37, v8
	v_add_u32_e32 v31, v8, v6
	v_mad_u64_u32 v[28:29], s[24:25], v25, s33, v[4:5]
	v_add_u32_e32 v27, s43, v9
	v_mov_b32_e32 v26, v5
	v_cndmask_b32_e64 v28, v31, v28, s[4:5]
	v_add_u32_e32 v30, v9, v1
	v_mad_u64_u32 v[26:27], s[24:25], v27, s27, v[26:27]
	v_ashrrev_i32_e32 v29, 31, v28
	v_cndmask_b32_e64 v26, v30, v26, s[4:5]
	v_lshlrev_b64 v[28:29], 2, v[28:29]
	v_mov_b32_e32 v32, s29
	v_ashrrev_i32_e32 v27, 31, v26
	v_add_co_u32_e32 v28, vcc, s28, v28
	v_lshlrev_b64 v[26:27], 2, v[26:27]
	v_addc_co_u32_e32 v29, vcc, v32, v29, vcc
	v_mov_b32_e32 v33, s29
	v_add_co_u32_e32 v26, vcc, s28, v26
	v_addc_co_u32_e32 v27, vcc, v33, v27, vcc
	global_load_dword v25, v[28:29], off
	global_load_dword v30, v[26:27], off
	v_add_u32_e32 v7, -2, v7
	v_cmp_eq_u32_e32 vcc, 0, v7
	v_add_u32_e32 v9, 4, v9
	v_add_u32_e32 v8, 4, v8
	s_or_b64 s[22:23], vcc, s[22:23]
	s_waitcnt vmcnt(0)
	ds_write2_b32 v24, v25, v30 offset1:66
	v_add_u32_e32 v24, 0x210, v24
	s_andn2_b64 exec, exec, s[22:23]
	s_cbranch_execnz .LBB4_204
; %bb.205:                              ;   in Loop: Header=BB4_201 Depth=2
	s_or_b64 exec, exec, s[22:23]
	s_mov_b64 s[22:23], 0
	s_and_saveexec_b64 s[24:25], s[8:9]
	s_xor_b64 s[24:25], exec, s[24:25]
; %bb.206:                              ;   in Loop: Header=BB4_201 Depth=2
	s_mov_b64 s[22:23], exec
; %bb.207:                              ;   in Loop: Header=BB4_201 Depth=2
	s_or_b64 exec, exec, s[24:25]
	s_orn2_b64 s[22:23], s[22:23], exec
	v_mov_b32_e32 v1, v13
	v_mov_b32_e32 v5, v20
.LBB4_208:                              ;   in Loop: Header=BB4_201 Depth=2
	s_or_b64 exec, exec, s[20:21]
	s_and_b64 exec, exec, s[22:23]
	s_cbranch_execz .LBB4_200
; %bb.209:                              ;   in Loop: Header=BB4_201 Depth=2
	v_add_u32_e32 v5, v21, v5
	s_mov_b64 s[20:21], 0
	s_branch .LBB4_211
.LBB4_210:                              ;   in Loop: Header=BB4_211 Depth=3
	v_ashrrev_i32_e32 v7, 31, v6
	v_lshlrev_b64 v[6:7], 2, v[6:7]
	v_mov_b32_e32 v8, s29
	v_add_co_u32_e32 v6, vcc, s28, v6
	v_addc_co_u32_e32 v7, vcc, v8, v7, vcc
	global_load_dword v6, v[6:7], off
	v_add_u32_e32 v1, 2, v1
	v_cmp_le_i32_e32 vcc, s33, v1
	s_or_b64 s[20:21], vcc, s[20:21]
	s_waitcnt vmcnt(0)
	ds_write_b32 v5, v6
	v_add_u32_e32 v5, 0x108, v5
	s_andn2_b64 exec, exec, s[20:21]
	s_cbranch_execz .LBB4_200
.LBB4_211:                              ;   Parent Loop BB4_198 Depth=1
                                        ;     Parent Loop BB4_201 Depth=2
                                        ; =>    This Inner Loop Header: Depth=3
	s_and_b64 vcc, exec, s[10:11]
	s_cbranch_vccnz .LBB4_213
; %bb.212:                              ;   in Loop: Header=BB4_211 Depth=3
	v_add_u32_e32 v6, v22, v1
	s_cbranch_execnz .LBB4_210
	s_branch .LBB4_214
.LBB4_213:                              ;   in Loop: Header=BB4_211 Depth=3
                                        ; implicit-def: $vgpr6
.LBB4_214:                              ;   in Loop: Header=BB4_211 Depth=3
	v_add_u32_e32 v6, s37, v1
	v_mad_u64_u32 v[6:7], s[22:23], v6, s33, v[4:5]
	s_branch .LBB4_210
.LBB4_215:                              ;   in Loop: Header=BB4_198 Depth=1
	s_or_b64 exec, exec, s[14:15]
	s_and_b64 vcc, exec, s[12:13]
	s_waitcnt lgkmcnt(0)
	s_cbranch_vccnz .LBB4_224
; %bb.216:                              ;   in Loop: Header=BB4_198 Depth=1
	s_mov_b32 s24, 0
	v_mov_b32_e32 v1, v19
	v_mov_b32_e32 v4, v18
	s_branch .LBB4_218
.LBB4_217:                              ;   in Loop: Header=BB4_218 Depth=2
	s_or_b64 exec, exec, s[16:17]
	s_add_i32 s24, s24, 1
	v_add_u32_e32 v4, 4, v4
	s_cmp_eq_u32 s24, s33
	v_add_u32_e32 v1, 0x88, v1
	s_cbranch_scc1 .LBB4_224
.LBB4_218:                              ;   Parent Loop BB4_198 Depth=1
                                        ; =>  This Loop Header: Depth=2
                                        ;       Child Loop BB4_221 Depth 3
                                        ;         Child Loop BB4_223 Depth 4
	s_and_saveexec_b64 s[16:17], s[0:1]
	s_cbranch_execz .LBB4_217
; %bb.219:                              ;   in Loop: Header=BB4_218 Depth=2
	v_add_u32_e32 v5, s24, v11
	s_lshl_b32 s25, s24, 2
	v_cmp_gt_i32_e32 vcc, s33, v5
	s_mov_b64 s[18:19], 0
	s_addk_i32 s25, 0x1080
	v_mov_b32_e32 v6, v4
	v_mov_b32_e32 v7, v10
	s_branch .LBB4_221
.LBB4_220:                              ;   in Loop: Header=BB4_221 Depth=3
	s_or_b64 exec, exec, s[20:21]
	v_add_u32_e32 v7, 32, v7
	v_cmp_le_i32_e64 s[14:15], s33, v7
	s_or_b64 s[18:19], s[14:15], s[18:19]
	v_add_u32_e32 v6, 0x1080, v6
	s_andn2_b64 exec, exec, s[18:19]
	s_cbranch_execz .LBB4_217
.LBB4_221:                              ;   Parent Loop BB4_198 Depth=1
                                        ;     Parent Loop BB4_218 Depth=2
                                        ; =>    This Loop Header: Depth=3
                                        ;         Child Loop BB4_223 Depth 4
	s_and_saveexec_b64 s[20:21], vcc
	s_cbranch_execz .LBB4_220
; %bb.222:                              ;   in Loop: Header=BB4_221 Depth=3
	v_mul_lo_u32 v8, v7, s30
	v_add_u32_e32 v8, s25, v8
	s_mov_b64 s[22:23], 0
	v_mov_b32_e32 v9, v1
	v_mov_b32_e32 v21, v6
	;; [unrolled: 1-line block ×3, first 2 shown]
.LBB4_223:                              ;   Parent Loop BB4_198 Depth=1
                                        ;     Parent Loop BB4_218 Depth=2
                                        ;       Parent Loop BB4_221 Depth=3
                                        ; =>      This Inner Loop Header: Depth=4
	ds_read_b32 v23, v9
	ds_read_b32 v24, v8
	;; [unrolled: 1-line block ×3, first 2 shown]
	v_add_u32_e32 v22, 2, v22
	v_cmp_le_i32_e64 s[14:15], s33, v22
	s_or_b64 s[22:23], s[14:15], s[22:23]
	v_add_u32_e32 v9, 8, v9
	s_waitcnt lgkmcnt(0)
	v_fma_f32 v23, -v23, v24, v25
	ds_write_b32 v21, v23
	v_add_u32_e32 v21, 8, v21
	s_andn2_b64 exec, exec, s[22:23]
	s_cbranch_execnz .LBB4_223
	s_branch .LBB4_220
.LBB4_224:                              ;   in Loop: Header=BB4_198 Depth=1
	s_waitcnt lgkmcnt(0)
	s_and_saveexec_b64 s[14:15], s[0:1]
	s_cbranch_execz .LBB4_241
; %bb.225:                              ;   in Loop: Header=BB4_198 Depth=1
	s_mov_b32 s43, s37
	s_mov_b64 s[16:17], 0
	v_mov_b32_e32 v21, v15
	v_mov_b32_e32 v22, v17
	;; [unrolled: 1-line block ×4, first 2 shown]
	s_branch .LBB4_227
.LBB4_226:                              ;   in Loop: Header=BB4_227 Depth=2
	s_or_b64 exec, exec, s[18:19]
	v_add_u32_e32 v4, 32, v4
	v_cmp_le_i32_e32 vcc, s33, v4
	v_add_u32_e32 v23, 0x80, v23
	v_add_u32_e32 v22, s36, v22
	s_or_b64 s[16:17], vcc, s[16:17]
	v_add_u32_e32 v21, 0x80, v21
	s_andn2_b64 exec, exec, s[16:17]
	s_cbranch_execz .LBB4_241
.LBB4_227:                              ;   Parent Loop BB4_198 Depth=1
                                        ; =>  This Loop Header: Depth=2
                                        ;       Child Loop BB4_230 Depth 3
                                        ;       Child Loop BB4_237 Depth 3
	s_and_saveexec_b64 s[18:19], s[2:3]
	s_cbranch_execz .LBB4_226
; %bb.228:                              ;   in Loop: Header=BB4_227 Depth=2
	s_mov_b64 s[22:23], -1
	v_mov_b32_e32 v1, v2
	v_mov_b32_e32 v5, v14
	s_and_saveexec_b64 s[20:21], s[6:7]
	s_cbranch_execz .LBB4_234
; %bb.229:                              ;   in Loop: Header=BB4_227 Depth=2
	v_add_u32_e32 v1, s37, v4
	v_mul_lo_u32 v6, v1, s33
	v_mov_b32_e32 v5, v4
	v_mov_b32_e32 v1, v6
	s_mov_b64 s[22:23], 0
	v_mov_b32_e32 v7, v12
	v_mov_b32_e32 v24, v23
	v_pk_mov_b32 v[8:9], v[2:3], v[2:3] op_sel:[0,1]
.LBB4_230:                              ;   Parent Loop BB4_198 Depth=1
                                        ;     Parent Loop BB4_227 Depth=2
                                        ; =>    This Inner Loop Header: Depth=3
	v_add_u32_e32 v25, s37, v8
	v_add_u32_e32 v33, v8, v6
	v_mad_u64_u32 v[30:31], s[24:25], v25, s33, v[4:5]
	v_add_u32_e32 v29, s43, v9
	v_mov_b32_e32 v28, v5
	v_cndmask_b32_e64 v30, v33, v30, s[4:5]
	ds_read2_b32 v[26:27], v24 offset1:66
	v_add_u32_e32 v32, v9, v1
	v_add_u32_e32 v7, -2, v7
	v_mad_u64_u32 v[28:29], s[24:25], v29, s27, v[28:29]
	v_ashrrev_i32_e32 v31, 31, v30
	v_cmp_eq_u32_e32 vcc, 0, v7
	v_cndmask_b32_e64 v28, v32, v28, s[4:5]
	v_lshlrev_b64 v[30:31], 2, v[30:31]
	v_mov_b32_e32 v34, s29
	s_or_b64 s[22:23], vcc, s[22:23]
	v_ashrrev_i32_e32 v29, 31, v28
	v_add_co_u32_e32 v30, vcc, s28, v30
	v_lshlrev_b64 v[28:29], 2, v[28:29]
	v_addc_co_u32_e32 v31, vcc, v34, v31, vcc
	v_mov_b32_e32 v35, s29
	v_add_u32_e32 v9, 4, v9
	v_add_u32_e32 v8, 4, v8
	;; [unrolled: 1-line block ×3, first 2 shown]
	v_add_co_u32_e32 v28, vcc, s28, v28
	v_addc_co_u32_e32 v29, vcc, v35, v29, vcc
	s_waitcnt lgkmcnt(0)
	global_store_dword v[30:31], v26, off
	global_store_dword v[28:29], v27, off
	s_andn2_b64 exec, exec, s[22:23]
	s_cbranch_execnz .LBB4_230
; %bb.231:                              ;   in Loop: Header=BB4_227 Depth=2
	s_or_b64 exec, exec, s[22:23]
	s_mov_b64 s[22:23], 0
	s_and_saveexec_b64 s[24:25], s[8:9]
	s_xor_b64 s[24:25], exec, s[24:25]
; %bb.232:                              ;   in Loop: Header=BB4_227 Depth=2
	s_mov_b64 s[22:23], exec
; %bb.233:                              ;   in Loop: Header=BB4_227 Depth=2
	s_or_b64 exec, exec, s[24:25]
	s_orn2_b64 s[22:23], s[22:23], exec
	v_mov_b32_e32 v1, v13
	v_mov_b32_e32 v5, v20
.LBB4_234:                              ;   in Loop: Header=BB4_227 Depth=2
	s_or_b64 exec, exec, s[20:21]
	s_and_b64 exec, exec, s[22:23]
	s_cbranch_execz .LBB4_226
; %bb.235:                              ;   in Loop: Header=BB4_227 Depth=2
	v_add_u32_e32 v5, v21, v5
	s_mov_b64 s[20:21], 0
	s_branch .LBB4_237
.LBB4_236:                              ;   in Loop: Header=BB4_237 Depth=3
	v_ashrrev_i32_e32 v7, 31, v6
	v_lshlrev_b64 v[6:7], 2, v[6:7]
	v_mov_b32_e32 v9, s29
	v_add_co_u32_e32 v6, vcc, s28, v6
	v_addc_co_u32_e32 v7, vcc, v9, v7, vcc
	v_add_u32_e32 v1, 2, v1
	v_cmp_le_i32_e32 vcc, s33, v1
	s_or_b64 s[20:21], vcc, s[20:21]
	v_add_u32_e32 v5, 0x108, v5
	s_waitcnt lgkmcnt(0)
	global_store_dword v[6:7], v8, off
	s_andn2_b64 exec, exec, s[20:21]
	s_cbranch_execz .LBB4_226
.LBB4_237:                              ;   Parent Loop BB4_198 Depth=1
                                        ;     Parent Loop BB4_227 Depth=2
                                        ; =>    This Inner Loop Header: Depth=3
	ds_read_b32 v8, v5
	s_and_b64 vcc, exec, s[10:11]
	s_cbranch_vccnz .LBB4_239
; %bb.238:                              ;   in Loop: Header=BB4_237 Depth=3
	v_add_u32_e32 v6, v22, v1
	s_cbranch_execnz .LBB4_236
	s_branch .LBB4_240
.LBB4_239:                              ;   in Loop: Header=BB4_237 Depth=3
                                        ; implicit-def: $vgpr6
.LBB4_240:                              ;   in Loop: Header=BB4_237 Depth=3
	v_add_u32_e32 v6, s37, v1
	v_mad_u64_u32 v[6:7], s[22:23], v6, s33, v[4:5]
	s_branch .LBB4_236
.LBB4_241:                              ;   in Loop: Header=BB4_198 Depth=1
	s_or_b64 exec, exec, s[14:15]
; %bb.242:                              ;   in Loop: Header=BB4_198 Depth=1
	s_add_i32 s26, s26, 1
	s_cmp_ge_i32 s26, s35
	v_add_u32_e32 v17, s31, v17
	s_cbranch_scc0 .LBB4_198
.LBB4_243:
	v_and_b32_e32 v1, 0x3ff, v0
	v_bfe_u32 v0, v0, 10, 10
	v_or_b32_e32 v0, v1, v0
	v_cmp_eq_u32_e32 vcc, 0, v0
	s_and_saveexec_b64 s[0:1], vcc
	s_cbranch_execz .LBB4_247
; %bb.244:
	s_add_u32 s0, s40, s44
	s_addc_u32 s1, s41, s45
	v_mov_b32_e32 v0, 0
	v_mov_b32_e32 v1, 1
	s_andn2_b64 vcc, exec, s[46:47]
	s_waitcnt vmcnt(0)
	global_store_dword v0, v1, s[0:1]
	s_cbranch_vccnz .LBB4_247
; %bb.245:
	v_mbcnt_lo_u32_b32 v0, exec_lo, 0
	v_mbcnt_hi_u32_b32 v0, exec_hi, v0
	v_cmp_eq_u32_e32 vcc, 0, v0
	s_and_b64 exec, exec, vcc
	s_cbranch_execz .LBB4_247
; %bb.246:
	s_add_i32 s0, s42, s34
	v_mov_b32_e32 v0, 0
	v_mov_b32_e32 v1, s0
	global_atomic_smin v0, v1, s[38:39]
.LBB4_247:
	s_endpgm
	.section	.rodata,"a",@progbits
	.p2align	6, 0x0
	.amdhsa_kernel _ZN9rocsparseL12bsrilu0_9_32ILj64ELj64ELj32EfEEv20rocsparse_direction_iPKiS3_PT2_S3_iPiS3_S6_21rocsparse_index_base_imNS_24const_host_device_scalarIfEENS8_IdEENS8_IS4_EEb
		.amdhsa_group_segment_fixed_size 8448
		.amdhsa_private_segment_fixed_size 0
		.amdhsa_kernarg_size 116
		.amdhsa_user_sgpr_count 6
		.amdhsa_user_sgpr_private_segment_buffer 1
		.amdhsa_user_sgpr_dispatch_ptr 0
		.amdhsa_user_sgpr_queue_ptr 0
		.amdhsa_user_sgpr_kernarg_segment_ptr 1
		.amdhsa_user_sgpr_dispatch_id 0
		.amdhsa_user_sgpr_flat_scratch_init 0
		.amdhsa_user_sgpr_kernarg_preload_length 0
		.amdhsa_user_sgpr_kernarg_preload_offset 0
		.amdhsa_user_sgpr_private_segment_size 0
		.amdhsa_uses_dynamic_stack 0
		.amdhsa_system_sgpr_private_segment_wavefront_offset 0
		.amdhsa_system_sgpr_workgroup_id_x 1
		.amdhsa_system_sgpr_workgroup_id_y 0
		.amdhsa_system_sgpr_workgroup_id_z 0
		.amdhsa_system_sgpr_workgroup_info 0
		.amdhsa_system_vgpr_workitem_id 1
		.amdhsa_next_free_vgpr 52
		.amdhsa_next_free_sgpr 84
		.amdhsa_accum_offset 52
		.amdhsa_reserve_vcc 1
		.amdhsa_reserve_flat_scratch 0
		.amdhsa_float_round_mode_32 0
		.amdhsa_float_round_mode_16_64 0
		.amdhsa_float_denorm_mode_32 3
		.amdhsa_float_denorm_mode_16_64 3
		.amdhsa_dx10_clamp 1
		.amdhsa_ieee_mode 1
		.amdhsa_fp16_overflow 0
		.amdhsa_tg_split 0
		.amdhsa_exception_fp_ieee_invalid_op 0
		.amdhsa_exception_fp_denorm_src 0
		.amdhsa_exception_fp_ieee_div_zero 0
		.amdhsa_exception_fp_ieee_overflow 0
		.amdhsa_exception_fp_ieee_underflow 0
		.amdhsa_exception_fp_ieee_inexact 0
		.amdhsa_exception_int_div_zero 0
	.end_amdhsa_kernel
	.section	.text._ZN9rocsparseL12bsrilu0_9_32ILj64ELj64ELj32EfEEv20rocsparse_direction_iPKiS3_PT2_S3_iPiS3_S6_21rocsparse_index_base_imNS_24const_host_device_scalarIfEENS8_IdEENS8_IS4_EEb,"axG",@progbits,_ZN9rocsparseL12bsrilu0_9_32ILj64ELj64ELj32EfEEv20rocsparse_direction_iPKiS3_PT2_S3_iPiS3_S6_21rocsparse_index_base_imNS_24const_host_device_scalarIfEENS8_IdEENS8_IS4_EEb,comdat
.Lfunc_end4:
	.size	_ZN9rocsparseL12bsrilu0_9_32ILj64ELj64ELj32EfEEv20rocsparse_direction_iPKiS3_PT2_S3_iPiS3_S6_21rocsparse_index_base_imNS_24const_host_device_scalarIfEENS8_IdEENS8_IS4_EEb, .Lfunc_end4-_ZN9rocsparseL12bsrilu0_9_32ILj64ELj64ELj32EfEEv20rocsparse_direction_iPKiS3_PT2_S3_iPiS3_S6_21rocsparse_index_base_imNS_24const_host_device_scalarIfEENS8_IdEENS8_IS4_EEb
                                        ; -- End function
	.section	.AMDGPU.csdata,"",@progbits
; Kernel info:
; codeLenInByte = 8892
; NumSgprs: 88
; NumVgprs: 52
; NumAgprs: 0
; TotalNumVgprs: 52
; ScratchSize: 0
; MemoryBound: 0
; FloatMode: 240
; IeeeMode: 1
; LDSByteSize: 8448 bytes/workgroup (compile time only)
; SGPRBlocks: 10
; VGPRBlocks: 6
; NumSGPRsForWavesPerEU: 88
; NumVGPRsForWavesPerEU: 52
; AccumOffset: 52
; Occupancy: 2
; WaveLimiterHint : 1
; COMPUTE_PGM_RSRC2:SCRATCH_EN: 0
; COMPUTE_PGM_RSRC2:USER_SGPR: 6
; COMPUTE_PGM_RSRC2:TRAP_HANDLER: 0
; COMPUTE_PGM_RSRC2:TGID_X_EN: 1
; COMPUTE_PGM_RSRC2:TGID_Y_EN: 0
; COMPUTE_PGM_RSRC2:TGID_Z_EN: 0
; COMPUTE_PGM_RSRC2:TIDIG_COMP_CNT: 1
; COMPUTE_PGM_RSRC3_GFX90A:ACCUM_OFFSET: 12
; COMPUTE_PGM_RSRC3_GFX90A:TG_SPLIT: 0
	.section	.text._ZN9rocsparseL13bsrilu0_33_64ILj64ELj64ELj64EfEEv20rocsparse_direction_iPKiS3_PT2_S3_iPiS3_S6_21rocsparse_index_base_imNS_24const_host_device_scalarIfEENS8_IdEENS8_IS4_EEb,"axG",@progbits,_ZN9rocsparseL13bsrilu0_33_64ILj64ELj64ELj64EfEEv20rocsparse_direction_iPKiS3_PT2_S3_iPiS3_S6_21rocsparse_index_base_imNS_24const_host_device_scalarIfEENS8_IdEENS8_IS4_EEb,comdat
	.globl	_ZN9rocsparseL13bsrilu0_33_64ILj64ELj64ELj64EfEEv20rocsparse_direction_iPKiS3_PT2_S3_iPiS3_S6_21rocsparse_index_base_imNS_24const_host_device_scalarIfEENS8_IdEENS8_IS4_EEb ; -- Begin function _ZN9rocsparseL13bsrilu0_33_64ILj64ELj64ELj64EfEEv20rocsparse_direction_iPKiS3_PT2_S3_iPiS3_S6_21rocsparse_index_base_imNS_24const_host_device_scalarIfEENS8_IdEENS8_IS4_EEb
	.p2align	8
	.type	_ZN9rocsparseL13bsrilu0_33_64ILj64ELj64ELj64EfEEv20rocsparse_direction_iPKiS3_PT2_S3_iPiS3_S6_21rocsparse_index_base_imNS_24const_host_device_scalarIfEENS8_IdEENS8_IS4_EEb,@function
_ZN9rocsparseL13bsrilu0_33_64ILj64ELj64ELj64EfEEv20rocsparse_direction_iPKiS3_PT2_S3_iPiS3_S6_21rocsparse_index_base_imNS_24const_host_device_scalarIfEENS8_IdEENS8_IS4_EEb: ; @_ZN9rocsparseL13bsrilu0_33_64ILj64ELj64ELj64EfEEv20rocsparse_direction_iPKiS3_PT2_S3_iPiS3_S6_21rocsparse_index_base_imNS_24const_host_device_scalarIfEENS8_IdEENS8_IS4_EEb
; %bb.0:
	s_load_dword s0, s[4:5], 0x70
	s_load_dwordx2 s[34:35], s[4:5], 0x48
	s_load_dwordx8 s[36:43], s[4:5], 0x50
	s_waitcnt lgkmcnt(0)
	s_bitcmp1_b32 s0, 0
	s_cselect_b64 s[0:1], -1, 0
	s_cmp_lg_u32 s35, 0
	s_cselect_b64 s[48:49], -1, 0
	s_cmp_eq_u32 s35, 0
	s_cselect_b64 s[2:3], -1, 0
	s_and_b64 s[8:9], s[2:3], exec
	s_cselect_b32 s10, 0, s40
	s_cselect_b32 s11, 0, s41
	s_or_b64 s[0:1], s[2:3], s[0:1]
	s_xor_b64 s[8:9], s[0:1], -1
	s_and_b64 vcc, exec, s[0:1]
	s_cbranch_vccnz .LBB5_2
; %bb.1:
	s_load_dword s0, s[38:39], 0x0
	s_mov_b64 s[10:11], s[40:41]
	s_waitcnt lgkmcnt(0)
	v_mov_b32_e32 v17, s0
	s_branch .LBB5_3
.LBB5_2:
	v_mov_b32_e32 v1, s38
	v_cndmask_b32_e64 v17, v1, 0, s[2:3]
.LBB5_3:
	v_cndmask_b32_e64 v1, 0, 1, s[8:9]
	v_cmp_ne_u32_e64 s[0:1], 1, v1
	s_andn2_b64 vcc, exec, s[8:9]
	v_pk_mov_b32 v[2:3], s[10:11], s[10:11] op_sel:[0,1]
	s_cbranch_vccnz .LBB5_5
; %bb.4:
	v_pk_mov_b32 v[2:3], s[40:41], s[40:41] op_sel:[0,1]
	flat_load_dwordx2 v[2:3], v[2:3]
.LBB5_5:
	s_and_b64 vcc, exec, s[0:1]
	s_mov_b32 s7, 0
	s_cbranch_vccnz .LBB5_7
; %bb.6:
	s_load_dword s0, s[42:43], 0x0
	s_waitcnt lgkmcnt(0)
	v_mov_b32_e32 v16, s0
	s_branch .LBB5_8
.LBB5_7:
	v_mov_b32_e32 v1, s42
	v_cndmask_b32_e64 v16, v1, 0, s[2:3]
.LBB5_8:
	s_load_dwordx4 s[28:31], s[4:5], 0x30
	s_load_dwordx2 s[38:39], s[4:5], 0x40
	s_lshl_b64 s[0:1], s[6:7], 2
	s_waitcnt lgkmcnt(0)
	s_add_u32 s0, s30, s0
	s_addc_u32 s1, s31, s1
	s_load_dword s30, s[0:1], 0x0
	s_load_dwordx8 s[20:27], s[4:5], 0x8
	s_waitcnt lgkmcnt(0)
	s_ashr_i32 s31, s30, 31
	s_lshl_b64 s[40:41], s[30:31], 2
	s_add_u32 s0, s26, s40
	s_addc_u32 s1, s27, s41
	s_load_dword s44, s[0:1], 0x0
	s_waitcnt lgkmcnt(0)
	s_cmp_eq_u32 s44, -1
	s_cbranch_scc1 .LBB5_127
; %bb.9:
	s_add_u32 s0, s20, s40
	s_addc_u32 s1, s21, s41
	s_load_dwordx2 s[2:3], s[0:1], 0x0
	s_load_dwordx2 s[46:47], s[4:5], 0x0
	s_load_dword s31, s[4:5], 0x28
	s_mov_b64 s[42:43], 0
	s_waitcnt lgkmcnt(0)
	s_sub_i32 s50, s2, s34
	s_sub_i32 s33, s3, s34
	s_cmp_ge_i32 s50, s44
	s_cbranch_scc1 .LBB5_104
; %bb.10:
	v_and_b32_e32 v18, 0x3ff, v0
	v_bfe_u32 v4, v0, 10, 10
	v_lshl_or_b32 v1, v4, 6, v18
	v_add_u32_e32 v6, s50, v1
	s_cmp_eq_u32 s46, 0
	v_ashrrev_i32_e32 v7, 31, v6
	s_cselect_b64 s[52:53], -1, 0
	s_cmp_gt_i32 s31, 0
	v_lshlrev_b64 v[8:9], 2, v[6:7]
	s_cselect_b64 s[54:55], -1, 0
	s_add_i32 s35, s47, 1
	v_mov_b32_e32 v1, s23
	v_add_co_u32_e32 v8, vcc, s22, v8
	s_cmp_lg_u32 s46, 0
	v_addc_co_u32_e32 v9, vcc, v1, v9, vcc
	v_sub_u32_e32 v1, s31, v4
	s_cselect_b64 s[6:7], -1, 0
	v_and_b32_e32 v7, -2, v1
	s_add_u32 s47, s20, 4
	s_mul_i32 s17, s31, s50
	v_cmp_lt_u32_e64 s[12:13], 1, v1
	v_cmp_ne_u32_e64 s[14:15], v1, v7
	s_addc_u32 s66, s21, 0
	v_add_u32_e32 v1, s17, v18
	v_add_u32_e32 v5, 1, v4
	v_add_u32_e32 v19, v4, v7
	s_add_u32 s67, s22, 0x100
	s_movk_i32 s16, 0x104
	v_lshlrev_b32_e32 v21, 2, v18
	v_mul_lo_u32 v23, s31, v1
	v_mbcnt_lo_u32_b32 v1, -1, 0
	v_cmp_gt_i32_e64 s[0:1], s31, v18
	v_cmp_le_i32_e64 s[2:3], s31, v18
	v_cmp_gt_i32_e64 s[4:5], s31, v4
	v_cmp_eq_u32_e64 s[8:9], 0, v4
	v_cmp_gt_i32_e64 s[10:11], s33, v6
	s_mov_b32 s45, s31
	s_addc_u32 s68, s23, 0
	v_mul_u32_u24_e32 v20, 0x104, v4
	v_mad_u32_u24 v22, v4, s16, v21
	s_lshl_b32 s69, s31, 6
	v_add_u32_e32 v24, v5, v23
	s_mul_i32 s70, s31, s31
	v_mad_u32_u24 v25, v4, s16, s16
	v_mov_b32_e32 v26, 0
	v_mul_lo_u32 v27, v19, s16
	v_cndmask_b32_e64 v28, 0, 1, s[52:53]
	v_cndmask_b32_e64 v29, 0, 1, s[6:7]
	v_mbcnt_hi_u32_b32 v30, -1, v1
	s_branch .LBB5_13
.LBB5_11:                               ;   in Loop: Header=BB5_13 Depth=1
	s_mov_b64 s[42:43], -1
.LBB5_12:                               ;   in Loop: Header=BB5_13 Depth=1
	s_add_i32 s50, s50, 1
	s_cmp_lt_i32 s50, s44
	s_cselect_b64 s[16:17], -1, 0
	s_and_b64 s[16:17], s[20:21], s[16:17]
	v_add_u32_e32 v24, s70, v24
	v_add_u32_e32 v23, s70, v23
	s_and_b64 vcc, exec, s[16:17]
	s_cbranch_vccz .LBB5_104
.LBB5_13:                               ; =>This Loop Header: Depth=1
                                        ;     Child Loop BB5_15 Depth 2
                                        ;     Child Loop BB5_19 Depth 2
                                        ;       Child Loop BB5_22 Depth 3
                                        ;       Child Loop BB5_29 Depth 3
                                        ;     Child Loop BB5_36 Depth 2
                                        ;       Child Loop BB5_39 Depth 3
                                        ;         Child Loop BB5_52 Depth 4
                                        ;     Child Loop BB5_61 Depth 2
                                        ;       Child Loop BB5_66 Depth 3
                                        ;       Child Loop BB5_75 Depth 3
                                        ;         Child Loop BB5_78 Depth 4
                                        ;         Child Loop BB5_85 Depth 4
                                        ;       Child Loop BB5_91 Depth 3
                                        ;         Child Loop BB5_94 Depth 4
                                        ;           Child Loop BB5_96 Depth 5
	s_ashr_i32 s51, s50, 31
	s_lshl_b64 s[16:17], s[50:51], 2
	s_add_u32 s16, s22, s16
	s_addc_u32 s17, s23, s17
	global_load_dword v1, v26, s[16:17]
	s_waitcnt vmcnt(0)
	v_readfirstlane_b32 s16, v1
	s_sub_i32 s16, s16, s34
	s_ashr_i32 s17, s16, 31
	s_lshl_b64 s[16:17], s[16:17], 2
	s_add_u32 s18, s26, s16
	s_addc_u32 s19, s27, s17
	global_load_dword v1, v26, s[18:19]
	s_waitcnt vmcnt(0)
	v_readfirstlane_b32 s64, v1
	v_cmp_eq_u32_e32 vcc, -1, v1
	s_cmp_lg_u32 s64, -1
	s_cselect_b64 s[20:21], -1, 0
	s_cbranch_vccnz .LBB5_11
; %bb.14:                               ;   in Loop: Header=BB5_13 Depth=1
	s_add_u32 s18, s47, s16
	s_addc_u32 s19, s66, s17
	global_load_dword v1, v26, s[18:19]
	s_add_u32 s16, s28, s16
	s_addc_u32 s17, s29, s17
	s_waitcnt vmcnt(0)
	v_readfirstlane_b32 s65, v1
.LBB5_15:                               ;   Parent Loop BB5_13 Depth=1
                                        ; =>  This Inner Loop Header: Depth=2
	global_load_dword v1, v26, s[16:17] glc
	s_waitcnt vmcnt(0)
	v_cmp_eq_u32_e32 vcc, 0, v1
	s_cbranch_vccnz .LBB5_15
; %bb.16:                               ;   in Loop: Header=BB5_13 Depth=1
	buffer_wbinvl1_vol
	s_and_saveexec_b64 s[16:17], s[0:1]
	s_cbranch_execz .LBB5_33
; %bb.17:                               ;   in Loop: Header=BB5_13 Depth=1
	s_mul_i32 s51, s64, s31
	v_add_u32_e32 v1, s51, v18
	s_mov_b32 s71, s51
	v_mul_lo_u32 v31, s31, v1
	s_mov_b64 s[18:19], 0
	s_waitcnt lgkmcnt(0)
	v_mov_b32_e32 v32, v21
	v_mov_b32_e32 v33, v22
	;; [unrolled: 1-line block ×3, first 2 shown]
	s_branch .LBB5_19
.LBB5_18:                               ;   in Loop: Header=BB5_19 Depth=2
	s_or_b64 exec, exec, s[56:57]
	v_add_u32_e32 v10, 64, v10
	v_cmp_le_i32_e32 vcc, s31, v10
	v_add_u32_e32 v33, 0x100, v33
	v_add_u32_e32 v31, s69, v31
	s_or_b64 s[18:19], vcc, s[18:19]
	v_add_u32_e32 v32, 0x100, v32
	s_andn2_b64 exec, exec, s[18:19]
	s_cbranch_execz .LBB5_33
.LBB5_19:                               ;   Parent Loop BB5_13 Depth=1
                                        ; =>  This Loop Header: Depth=2
                                        ;       Child Loop BB5_22 Depth 3
                                        ;       Child Loop BB5_29 Depth 3
	s_and_saveexec_b64 s[56:57], s[4:5]
	s_cbranch_execz .LBB5_18
; %bb.20:                               ;   in Loop: Header=BB5_19 Depth=2
	s_mov_b64 s[60:61], -1
	v_mov_b32_e32 v1, v4
	v_mov_b32_e32 v11, v20
	s_and_saveexec_b64 s[58:59], s[12:13]
	s_cbranch_execz .LBB5_26
; %bb.21:                               ;   in Loop: Header=BB5_19 Depth=2
	v_add_u32_e32 v1, s51, v10
	v_mul_lo_u32 v12, v1, s31
	v_mov_b32_e32 v11, v10
	v_mov_b32_e32 v1, v12
	s_mov_b64 s[60:61], 0
	v_mov_b32_e32 v13, v33
	v_mov_b32_e32 v34, v7
	v_pk_mov_b32 v[14:15], v[4:5], v[4:5] op_sel:[0,1]
.LBB5_22:                               ;   Parent Loop BB5_13 Depth=1
                                        ;     Parent Loop BB5_19 Depth=2
                                        ; =>    This Inner Loop Header: Depth=3
	v_add_u32_e32 v35, s51, v14
	v_add_u32_e32 v41, v14, v12
	v_mad_u64_u32 v[38:39], s[62:63], v35, s31, v[10:11]
	v_add_u32_e32 v37, s71, v15
	v_mov_b32_e32 v36, v11
	v_cndmask_b32_e64 v38, v41, v38, s[6:7]
	v_add_u32_e32 v40, v15, v1
	v_mad_u64_u32 v[36:37], s[62:63], v37, s45, v[36:37]
	v_ashrrev_i32_e32 v39, 31, v38
	v_cndmask_b32_e64 v36, v40, v36, s[6:7]
	v_lshlrev_b64 v[38:39], 2, v[38:39]
	v_mov_b32_e32 v42, s25
	v_ashrrev_i32_e32 v37, 31, v36
	v_add_co_u32_e32 v38, vcc, s24, v38
	v_lshlrev_b64 v[36:37], 2, v[36:37]
	v_addc_co_u32_e32 v39, vcc, v42, v39, vcc
	v_mov_b32_e32 v43, s25
	v_add_co_u32_e32 v36, vcc, s24, v36
	v_addc_co_u32_e32 v37, vcc, v43, v37, vcc
	global_load_dword v35, v[38:39], off
	s_nop 0
	global_load_dword v36, v[36:37], off
	v_add_u32_e32 v34, -2, v34
	v_cmp_eq_u32_e32 vcc, 0, v34
	v_add_u32_e32 v15, 2, v15
	v_add_u32_e32 v14, 2, v14
	s_or_b64 s[60:61], vcc, s[60:61]
	s_waitcnt vmcnt(0)
	ds_write2_b32 v13, v35, v36 offset1:65
	v_add_u32_e32 v13, 0x208, v13
	s_andn2_b64 exec, exec, s[60:61]
	s_cbranch_execnz .LBB5_22
; %bb.23:                               ;   in Loop: Header=BB5_19 Depth=2
	s_or_b64 exec, exec, s[60:61]
	s_mov_b64 s[60:61], 0
	s_and_saveexec_b64 s[62:63], s[14:15]
	s_xor_b64 s[62:63], exec, s[62:63]
; %bb.24:                               ;   in Loop: Header=BB5_19 Depth=2
	s_mov_b64 s[60:61], exec
; %bb.25:                               ;   in Loop: Header=BB5_19 Depth=2
	s_or_b64 exec, exec, s[62:63]
	s_orn2_b64 s[60:61], s[60:61], exec
	v_mov_b32_e32 v1, v19
	v_mov_b32_e32 v11, v27
.LBB5_26:                               ;   in Loop: Header=BB5_19 Depth=2
	s_or_b64 exec, exec, s[58:59]
	s_and_b64 exec, exec, s[60:61]
	s_cbranch_execz .LBB5_18
; %bb.27:                               ;   in Loop: Header=BB5_19 Depth=2
	v_add_u32_e32 v11, v32, v11
	s_mov_b64 s[58:59], 0
	s_branch .LBB5_29
.LBB5_28:                               ;   in Loop: Header=BB5_29 Depth=3
	v_ashrrev_i32_e32 v13, 31, v12
	v_lshlrev_b64 v[12:13], 2, v[12:13]
	v_mov_b32_e32 v14, s25
	v_add_co_u32_e32 v12, vcc, s24, v12
	v_addc_co_u32_e32 v13, vcc, v14, v13, vcc
	global_load_dword v12, v[12:13], off
	v_add_u32_e32 v1, 1, v1
	v_cmp_le_i32_e32 vcc, s31, v1
	s_or_b64 s[58:59], vcc, s[58:59]
	s_waitcnt vmcnt(0)
	ds_write_b32 v11, v12
	v_add_u32_e32 v11, 0x104, v11
	s_andn2_b64 exec, exec, s[58:59]
	s_cbranch_execz .LBB5_18
.LBB5_29:                               ;   Parent Loop BB5_13 Depth=1
                                        ;     Parent Loop BB5_19 Depth=2
                                        ; =>    This Inner Loop Header: Depth=3
	s_andn2_b64 vcc, exec, s[52:53]
	s_cbranch_vccnz .LBB5_31
; %bb.30:                               ;   in Loop: Header=BB5_29 Depth=3
	v_add_u32_e32 v12, v31, v1
	s_cbranch_execnz .LBB5_28
	s_branch .LBB5_32
.LBB5_31:                               ;   in Loop: Header=BB5_29 Depth=3
                                        ; implicit-def: $vgpr12
.LBB5_32:                               ;   in Loop: Header=BB5_29 Depth=3
	v_add_u32_e32 v12, s51, v1
	v_mad_u64_u32 v[12:13], s[60:61], v12, s31, v[10:11]
	s_branch .LBB5_28
.LBB5_33:                               ;   in Loop: Header=BB5_13 Depth=1
	s_or_b64 exec, exec, s[16:17]
	s_andn2_b64 vcc, exec, s[54:55]
	s_mul_i32 s51, s50, s31
	s_waitcnt lgkmcnt(0)
	s_cbranch_vccnz .LBB5_56
; %bb.34:                               ;   in Loop: Header=BB5_13 Depth=1
	s_mov_b32 s71, 0
	v_mov_b32_e32 v1, v25
	v_mov_b32_e32 v11, v24
	s_branch .LBB5_36
.LBB5_35:                               ;   in Loop: Header=BB5_36 Depth=2
	s_or_b64 exec, exec, s[56:57]
	s_add_i32 s71, s71, 1
	v_add_u32_e32 v11, 1, v11
	s_cmp_eq_u32 s71, s31
	v_add_u32_e32 v1, 0x108, v1
	s_cbranch_scc1 .LBB5_56
.LBB5_36:                               ;   Parent Loop BB5_13 Depth=1
                                        ; =>  This Loop Header: Depth=2
                                        ;       Child Loop BB5_39 Depth 3
                                        ;         Child Loop BB5_52 Depth 4
	s_and_saveexec_b64 s[56:57], s[0:1]
	s_cbranch_execz .LBB5_35
; %bb.37:                               ;   in Loop: Header=BB5_36 Depth=2
	s_lshl_b32 s16, s71, 2
	s_mul_i32 s17, s71, 0x104
	s_add_i32 s16, s17, s16
	v_mov_b32_e32 v10, s16
	ds_read_b32 v14, v10
	s_add_i32 s72, s71, s51
	v_add_u32_e32 v15, s71, v5
	s_mul_i32 s72, s72, s31
	v_cmp_gt_i32_e64 s[16:17], s31, v15
	s_mov_b64 s[58:59], 0
	v_mov_b32_e32 v31, v11
	v_mov_b32_e32 v10, v18
	s_branch .LBB5_39
.LBB5_38:                               ;   in Loop: Header=BB5_39 Depth=3
	s_or_b64 exec, exec, s[60:61]
	v_add_u32_e32 v10, 64, v10
	v_cmp_le_i32_e32 vcc, s31, v10
	s_or_b64 s[58:59], vcc, s[58:59]
	v_add_u32_e32 v31, s69, v31
	s_andn2_b64 exec, exec, s[58:59]
	s_cbranch_execz .LBB5_35
.LBB5_39:                               ;   Parent Loop BB5_13 Depth=1
                                        ;     Parent Loop BB5_36 Depth=2
                                        ; =>    This Loop Header: Depth=3
                                        ;         Child Loop BB5_52 Depth 4
	v_cmp_ne_u32_e64 s[18:19], 1, v28
	s_andn2_b64 vcc, exec, s[52:53]
	s_cbranch_vccnz .LBB5_41
; %bb.40:                               ;   in Loop: Header=BB5_39 Depth=3
	v_add_u32_e32 v12, s51, v10
	v_mul_lo_u32 v12, v12, s31
	v_add_u32_e32 v12, s71, v12
	s_cbranch_execz .LBB5_42
	s_branch .LBB5_43
.LBB5_41:                               ;   in Loop: Header=BB5_39 Depth=3
                                        ; implicit-def: $vgpr12
.LBB5_42:                               ;   in Loop: Header=BB5_39 Depth=3
	v_add_u32_e32 v12, s72, v10
.LBB5_43:                               ;   in Loop: Header=BB5_39 Depth=3
	v_ashrrev_i32_e32 v13, 31, v12
	v_lshlrev_b64 v[12:13], 2, v[12:13]
	v_mov_b32_e32 v32, s25
	v_add_co_u32_e32 v12, vcc, s24, v12
	v_addc_co_u32_e32 v13, vcc, v32, v13, vcc
	global_load_dword v12, v[12:13], off
	s_waitcnt vmcnt(0) lgkmcnt(0)
	v_div_scale_f32 v13, s[60:61], v14, v14, v12
	v_rcp_f32_e32 v32, v13
	v_div_scale_f32 v33, vcc, v12, v14, v12
	v_fma_f32 v34, -v13, v32, 1.0
	v_fmac_f32_e32 v32, v34, v32
	v_mul_f32_e32 v34, v33, v32
	v_fma_f32 v35, -v13, v34, v33
	v_fmac_f32_e32 v34, v35, v32
	v_fma_f32 v13, -v13, v34, v33
	v_div_fmas_f32 v13, v13, v32, v34
	v_div_fixup_f32 v32, v13, v14, v12
	s_and_saveexec_b64 s[60:61], s[8:9]
	s_cbranch_execz .LBB5_49
; %bb.44:                               ;   in Loop: Header=BB5_39 Depth=3
	s_and_b64 vcc, exec, s[18:19]
	s_cbranch_vccnz .LBB5_46
; %bb.45:                               ;   in Loop: Header=BB5_39 Depth=3
	v_add_u32_e32 v12, s51, v10
	v_mul_lo_u32 v12, v12, s31
	v_add_u32_e32 v12, s71, v12
	s_cbranch_execz .LBB5_47
	s_branch .LBB5_48
.LBB5_46:                               ;   in Loop: Header=BB5_39 Depth=3
                                        ; implicit-def: $vgpr12
.LBB5_47:                               ;   in Loop: Header=BB5_39 Depth=3
	v_add_u32_e32 v12, s72, v10
.LBB5_48:                               ;   in Loop: Header=BB5_39 Depth=3
	v_ashrrev_i32_e32 v13, 31, v12
	v_lshlrev_b64 v[12:13], 2, v[12:13]
	v_mov_b32_e32 v33, s25
	v_add_co_u32_e32 v12, vcc, s24, v12
	v_addc_co_u32_e32 v13, vcc, v33, v13, vcc
	global_store_dword v[12:13], v32, off
.LBB5_49:                               ;   in Loop: Header=BB5_39 Depth=3
	s_or_b64 exec, exec, s[60:61]
	s_and_saveexec_b64 s[60:61], s[16:17]
	s_cbranch_execz .LBB5_38
; %bb.50:                               ;   in Loop: Header=BB5_39 Depth=3
	s_mov_b64 s[62:63], 0
	v_mov_b32_e32 v33, v1
	v_mov_b32_e32 v34, v31
	;; [unrolled: 1-line block ×3, first 2 shown]
	s_branch .LBB5_52
.LBB5_51:                               ;   in Loop: Header=BB5_52 Depth=4
	v_ashrrev_i32_e32 v13, 31, v12
	v_lshlrev_b64 v[12:13], 2, v[12:13]
	v_mov_b32_e32 v37, s25
	v_add_co_u32_e32 v12, vcc, s24, v12
	v_addc_co_u32_e32 v13, vcc, v37, v13, vcc
	v_add_u32_e32 v35, 1, v35
	v_cmp_le_i32_e32 vcc, s31, v35
	s_waitcnt vmcnt(0) lgkmcnt(0)
	v_fma_f32 v36, -v32, v36, v38
	v_add_u32_e32 v34, 1, v34
	s_or_b64 s[62:63], vcc, s[62:63]
	v_add_u32_e32 v33, 0x104, v33
	global_store_dword v[12:13], v36, off
	s_andn2_b64 exec, exec, s[62:63]
	s_cbranch_execz .LBB5_38
.LBB5_52:                               ;   Parent Loop BB5_13 Depth=1
                                        ;     Parent Loop BB5_36 Depth=2
                                        ;       Parent Loop BB5_39 Depth=3
                                        ; =>      This Inner Loop Header: Depth=4
	ds_read_b32 v36, v33
	v_cmp_ne_u32_e64 s[18:19], 1, v29
	s_andn2_b64 vcc, exec, s[6:7]
	v_add_u32_e32 v37, s51, v35
	v_mov_b32_e32 v12, v34
	s_cbranch_vccnz .LBB5_54
; %bb.53:                               ;   in Loop: Header=BB5_52 Depth=4
	v_mad_u64_u32 v[12:13], s[74:75], v37, s31, v[10:11]
.LBB5_54:                               ;   in Loop: Header=BB5_52 Depth=4
	v_ashrrev_i32_e32 v13, 31, v12
	v_lshlrev_b64 v[12:13], 2, v[12:13]
	v_mov_b32_e32 v38, s25
	v_add_co_u32_e32 v12, vcc, s24, v12
	v_addc_co_u32_e32 v13, vcc, v38, v13, vcc
	global_load_dword v38, v[12:13], off
	s_and_b64 vcc, exec, s[18:19]
	v_mov_b32_e32 v12, v34
	s_cbranch_vccnz .LBB5_51
; %bb.55:                               ;   in Loop: Header=BB5_52 Depth=4
	v_mad_u64_u32 v[12:13], s[18:19], v37, s31, v[10:11]
	s_branch .LBB5_51
.LBB5_56:                               ;   in Loop: Header=BB5_13 Depth=1
	s_sub_i32 s71, s65, s34
	s_add_i32 s16, s64, 1
	s_cmp_ge_i32 s16, s71
	s_cbranch_scc1 .LBB5_12
; %bb.57:                               ;   in Loop: Header=BB5_13 Depth=1
	s_mul_i32 s17, s31, s16
	v_add_u32_e32 v1, s17, v18
	v_mul_lo_u32 v31, s31, v1
	s_branch .LBB5_61
.LBB5_58:                               ;   in Loop: Header=BB5_61 Depth=2
	s_or_b64 exec, exec, s[56:57]
.LBB5_59:                               ;   in Loop: Header=BB5_61 Depth=2
	s_or_b64 exec, exec, s[18:19]
.LBB5_60:                               ;   in Loop: Header=BB5_61 Depth=2
	s_add_i32 s16, s16, 1
	s_cmp_lt_i32 s16, s71
	v_add_u32_e32 v31, s70, v31
	s_cbranch_scc0 .LBB5_12
.LBB5_61:                               ;   Parent Loop BB5_13 Depth=1
                                        ; =>  This Loop Header: Depth=2
                                        ;       Child Loop BB5_66 Depth 3
                                        ;       Child Loop BB5_75 Depth 3
                                        ;         Child Loop BB5_78 Depth 4
                                        ;         Child Loop BB5_85 Depth 4
                                        ;       Child Loop BB5_91 Depth 3
                                        ;         Child Loop BB5_94 Depth 4
                                        ;           Child Loop BB5_96 Depth 5
	s_ashr_i32 s17, s16, 31
	s_lshl_b64 s[18:19], s[16:17], 2
	s_add_u32 s18, s22, s18
	s_addc_u32 s19, s23, s19
	global_load_dword v1, v26, s[18:19]
	v_mov_b32_e32 v11, s35
	s_and_saveexec_b64 s[18:19], s[10:11]
	s_cbranch_execz .LBB5_63
; %bb.62:                               ;   in Loop: Header=BB5_61 Depth=2
	global_load_dword v10, v[8:9], off
	s_waitcnt vmcnt(0)
	v_subrev_u32_e32 v11, s34, v10
.LBB5_63:                               ;   in Loop: Header=BB5_61 Depth=2
	s_or_b64 exec, exec, s[18:19]
	s_waitcnt vmcnt(0)
	v_subrev_u32_e32 v1, s34, v1
	v_cmp_lt_i32_e32 vcc, v11, v1
	v_mov_b32_e32 v12, v6
	s_and_saveexec_b64 s[18:19], vcc
	s_cbranch_execz .LBB5_69
; %bb.64:                               ;   in Loop: Header=BB5_61 Depth=2
	s_mov_b64 s[56:57], 0
	v_mov_b32_e32 v10, v6
	s_branch .LBB5_66
.LBB5_65:                               ;   in Loop: Header=BB5_66 Depth=3
	s_or_b64 exec, exec, s[58:59]
	v_cmp_ge_i32_e32 vcc, v11, v1
	s_or_b64 s[56:57], vcc, s[56:57]
	v_mov_b32_e32 v10, v12
	s_andn2_b64 exec, exec, s[56:57]
	s_cbranch_execz .LBB5_68
.LBB5_66:                               ;   Parent Loop BB5_13 Depth=1
                                        ;     Parent Loop BB5_61 Depth=2
                                        ; =>    This Inner Loop Header: Depth=3
	v_add_u32_e32 v12, 64, v10
	v_cmp_gt_i32_e32 vcc, s33, v12
	v_mov_b32_e32 v11, s35
	s_and_saveexec_b64 s[58:59], vcc
	s_cbranch_execz .LBB5_65
; %bb.67:                               ;   in Loop: Header=BB5_66 Depth=3
	v_ashrrev_i32_e32 v11, 31, v10
	v_lshlrev_b64 v[10:11], 2, v[10:11]
	v_mov_b32_e32 v13, s68
	v_add_co_u32_e32 v10, vcc, s67, v10
	v_addc_co_u32_e32 v11, vcc, v13, v11, vcc
	global_load_dword v10, v[10:11], off
	s_waitcnt vmcnt(0)
	v_subrev_u32_e32 v11, s34, v10
	s_branch .LBB5_65
.LBB5_68:                               ;   in Loop: Header=BB5_61 Depth=2
	s_or_b64 exec, exec, s[56:57]
.LBB5_69:                               ;   in Loop: Header=BB5_61 Depth=2
	s_or_b64 exec, exec, s[18:19]
	v_cmp_eq_u32_e32 vcc, v11, v1
	s_cbranch_vccz .LBB5_60
; %bb.70:                               ;   in Loop: Header=BB5_61 Depth=2
	s_ff1_i32_b64 s17, vcc
	v_and_or_b32 v1, v30, 64, s17
	v_lshlrev_b32_e32 v1, 2, v1
	s_waitcnt lgkmcnt(0)
	ds_bpermute_b32 v32, v1, v12
	s_and_saveexec_b64 s[18:19], s[2:3]
	s_xor_b64 s[18:19], exec, s[18:19]
	s_cbranch_execz .LBB5_72
; %bb.71:                               ;   in Loop: Header=BB5_61 Depth=2
	s_waitcnt lgkmcnt(0)
                                        ; implicit-def: $vgpr32
.LBB5_72:                               ;   in Loop: Header=BB5_61 Depth=2
	s_andn2_saveexec_b64 s[18:19], s[18:19]
	s_cbranch_execz .LBB5_59
; %bb.73:                               ;   in Loop: Header=BB5_61 Depth=2
	s_mul_i32 s17, s16, s31
	s_mov_b32 s72, s17
	s_mov_b64 s[56:57], 0
	v_mov_b32_e32 v33, v21
	v_mov_b32_e32 v34, v31
	;; [unrolled: 1-line block ×4, first 2 shown]
	s_branch .LBB5_75
.LBB5_74:                               ;   in Loop: Header=BB5_75 Depth=3
	s_or_b64 exec, exec, s[58:59]
	v_add_u32_e32 v10, 64, v10
	v_cmp_le_i32_e32 vcc, s31, v10
	v_add_u32_e32 v35, 0x100, v35
	v_add_u32_e32 v34, s69, v34
	s_or_b64 s[56:57], vcc, s[56:57]
	v_add_u32_e32 v33, 0x100, v33
	s_andn2_b64 exec, exec, s[56:57]
	s_cbranch_execz .LBB5_89
.LBB5_75:                               ;   Parent Loop BB5_13 Depth=1
                                        ;     Parent Loop BB5_61 Depth=2
                                        ; =>    This Loop Header: Depth=3
                                        ;         Child Loop BB5_78 Depth 4
                                        ;         Child Loop BB5_85 Depth 4
	s_and_saveexec_b64 s[58:59], s[4:5]
	s_cbranch_execz .LBB5_74
; %bb.76:                               ;   in Loop: Header=BB5_75 Depth=3
	s_mov_b64 s[62:63], -1
	v_mov_b32_e32 v1, v4
	v_mov_b32_e32 v11, v20
	s_and_saveexec_b64 s[60:61], s[12:13]
	s_cbranch_execz .LBB5_82
; %bb.77:                               ;   in Loop: Header=BB5_75 Depth=3
	v_add_u32_e32 v1, s17, v10
	v_mul_lo_u32 v12, v1, s31
	v_mov_b32_e32 v11, v10
	v_mov_b32_e32 v1, v12
	s_mov_b64 s[62:63], 0
	v_mov_b32_e32 v13, v35
	v_mov_b32_e32 v36, v7
	v_pk_mov_b32 v[14:15], v[4:5], v[4:5] op_sel:[0,1]
.LBB5_78:                               ;   Parent Loop BB5_13 Depth=1
                                        ;     Parent Loop BB5_61 Depth=2
                                        ;       Parent Loop BB5_75 Depth=3
                                        ; =>      This Inner Loop Header: Depth=4
	v_add_u32_e32 v37, s17, v14
	v_add_u32_e32 v43, v14, v12
	v_mad_u64_u32 v[40:41], s[64:65], v37, s31, v[10:11]
	v_add_u32_e32 v39, s72, v15
	v_mov_b32_e32 v38, v11
	v_cndmask_b32_e64 v40, v43, v40, s[6:7]
	v_add_u32_e32 v42, v15, v1
	v_mad_u64_u32 v[38:39], s[64:65], v39, s45, v[38:39]
	v_ashrrev_i32_e32 v41, 31, v40
	v_cndmask_b32_e64 v38, v42, v38, s[6:7]
	v_lshlrev_b64 v[40:41], 2, v[40:41]
	v_mov_b32_e32 v44, s25
	v_ashrrev_i32_e32 v39, 31, v38
	v_add_co_u32_e32 v40, vcc, s24, v40
	v_lshlrev_b64 v[38:39], 2, v[38:39]
	v_addc_co_u32_e32 v41, vcc, v44, v41, vcc
	v_mov_b32_e32 v45, s25
	v_add_co_u32_e32 v38, vcc, s24, v38
	v_addc_co_u32_e32 v39, vcc, v45, v39, vcc
	global_load_dword v37, v[40:41], off
	s_nop 0
	global_load_dword v38, v[38:39], off
	v_add_u32_e32 v36, -2, v36
	v_cmp_eq_u32_e32 vcc, 0, v36
	v_add_u32_e32 v15, 2, v15
	v_add_u32_e32 v14, 2, v14
	s_or_b64 s[62:63], vcc, s[62:63]
	s_waitcnt vmcnt(0)
	ds_write2_b32 v13, v37, v38 offset1:65
	v_add_u32_e32 v13, 0x208, v13
	s_andn2_b64 exec, exec, s[62:63]
	s_cbranch_execnz .LBB5_78
; %bb.79:                               ;   in Loop: Header=BB5_75 Depth=3
	s_or_b64 exec, exec, s[62:63]
	s_mov_b64 s[62:63], 0
	s_and_saveexec_b64 s[64:65], s[14:15]
	s_xor_b64 s[64:65], exec, s[64:65]
; %bb.80:                               ;   in Loop: Header=BB5_75 Depth=3
	s_mov_b64 s[62:63], exec
; %bb.81:                               ;   in Loop: Header=BB5_75 Depth=3
	s_or_b64 exec, exec, s[64:65]
	s_orn2_b64 s[62:63], s[62:63], exec
	v_mov_b32_e32 v1, v19
	v_mov_b32_e32 v11, v27
.LBB5_82:                               ;   in Loop: Header=BB5_75 Depth=3
	s_or_b64 exec, exec, s[60:61]
	s_and_b64 exec, exec, s[62:63]
	s_cbranch_execz .LBB5_74
; %bb.83:                               ;   in Loop: Header=BB5_75 Depth=3
	v_add_u32_e32 v11, v33, v11
	s_mov_b64 s[60:61], 0
	s_branch .LBB5_85
.LBB5_84:                               ;   in Loop: Header=BB5_85 Depth=4
	v_ashrrev_i32_e32 v13, 31, v12
	v_lshlrev_b64 v[12:13], 2, v[12:13]
	v_mov_b32_e32 v14, s25
	v_add_co_u32_e32 v12, vcc, s24, v12
	v_addc_co_u32_e32 v13, vcc, v14, v13, vcc
	global_load_dword v12, v[12:13], off
	v_add_u32_e32 v1, 1, v1
	v_cmp_le_i32_e32 vcc, s31, v1
	s_or_b64 s[60:61], vcc, s[60:61]
	s_waitcnt vmcnt(0)
	ds_write_b32 v11, v12
	v_add_u32_e32 v11, 0x104, v11
	s_andn2_b64 exec, exec, s[60:61]
	s_cbranch_execz .LBB5_74
.LBB5_85:                               ;   Parent Loop BB5_13 Depth=1
                                        ;     Parent Loop BB5_61 Depth=2
                                        ;       Parent Loop BB5_75 Depth=3
                                        ; =>      This Inner Loop Header: Depth=4
	s_andn2_b64 vcc, exec, s[52:53]
	s_cbranch_vccnz .LBB5_87
; %bb.86:                               ;   in Loop: Header=BB5_85 Depth=4
	v_add_u32_e32 v12, v34, v1
	s_cbranch_execnz .LBB5_84
	s_branch .LBB5_88
.LBB5_87:                               ;   in Loop: Header=BB5_85 Depth=4
                                        ; implicit-def: $vgpr12
.LBB5_88:                               ;   in Loop: Header=BB5_85 Depth=4
	v_add_u32_e32 v12, s17, v1
	v_mad_u64_u32 v[12:13], s[62:63], v12, s31, v[10:11]
	s_branch .LBB5_84
.LBB5_89:                               ;   in Loop: Header=BB5_61 Depth=2
	s_or_b64 exec, exec, s[56:57]
	s_waitcnt lgkmcnt(0)
	v_mul_lo_u32 v1, v32, s31
	s_mov_b64 s[56:57], 0
	v_mov_b32_e32 v11, v23
	v_mov_b32_e32 v10, v18
	s_branch .LBB5_91
.LBB5_90:                               ;   in Loop: Header=BB5_91 Depth=3
	s_or_b64 exec, exec, s[58:59]
	v_add_u32_e32 v10, 64, v10
	v_cmp_le_i32_e32 vcc, s31, v10
	s_or_b64 s[56:57], vcc, s[56:57]
	v_add_u32_e32 v11, s69, v11
	s_andn2_b64 exec, exec, s[56:57]
	s_cbranch_execz .LBB5_58
.LBB5_91:                               ;   Parent Loop BB5_13 Depth=1
                                        ;     Parent Loop BB5_61 Depth=2
                                        ; =>    This Loop Header: Depth=3
                                        ;         Child Loop BB5_94 Depth 4
                                        ;           Child Loop BB5_96 Depth 5
	s_and_saveexec_b64 s[58:59], s[4:5]
	s_cbranch_execz .LBB5_90
; %bb.92:                               ;   in Loop: Header=BB5_91 Depth=3
	v_add_u32_e32 v12, v10, v1
	v_mul_lo_u32 v14, v12, s31
	s_mov_b64 s[60:61], 0
	v_mov_b32_e32 v15, v20
	v_mov_b32_e32 v32, v4
	s_branch .LBB5_94
.LBB5_93:                               ;   in Loop: Header=BB5_94 Depth=4
	v_ashrrev_i32_e32 v13, 31, v12
	v_lshlrev_b64 v[12:13], 2, v[12:13]
	v_mov_b32_e32 v34, s25
	v_add_co_u32_e32 v12, vcc, s24, v12
	v_addc_co_u32_e32 v13, vcc, v34, v13, vcc
	global_load_dword v34, v[12:13], off
	v_add_u32_e32 v32, 1, v32
	v_cmp_le_i32_e32 vcc, s31, v32
	s_or_b64 s[60:61], vcc, s[60:61]
	v_add_u32_e32 v15, 0x104, v15
	s_waitcnt vmcnt(0)
	v_sub_f32_e32 v33, v34, v33
	global_store_dword v[12:13], v33, off
	s_andn2_b64 exec, exec, s[60:61]
	s_cbranch_execz .LBB5_90
.LBB5_94:                               ;   Parent Loop BB5_13 Depth=1
                                        ;     Parent Loop BB5_61 Depth=2
                                        ;       Parent Loop BB5_91 Depth=3
                                        ; =>      This Loop Header: Depth=4
                                        ;           Child Loop BB5_96 Depth 5
	s_mov_b32 s17, 0
	v_mov_b32_e32 v33, 0
	v_mov_b32_e32 v34, v15
	s_branch .LBB5_96
.LBB5_95:                               ;   in Loop: Header=BB5_96 Depth=5
	v_ashrrev_i32_e32 v13, 31, v12
	v_lshlrev_b64 v[12:13], 2, v[12:13]
	v_mov_b32_e32 v35, s25
	v_add_co_u32_e32 v12, vcc, s24, v12
	v_addc_co_u32_e32 v13, vcc, v35, v13, vcc
	global_load_dword v12, v[12:13], off
	ds_read_b32 v13, v34
	s_add_i32 s17, s17, 1
	s_cmp_eq_u32 s31, s17
	v_add_u32_e32 v34, 4, v34
	s_waitcnt vmcnt(0) lgkmcnt(0)
	v_fmac_f32_e32 v33, v12, v13
	s_cbranch_scc1 .LBB5_100
.LBB5_96:                               ;   Parent Loop BB5_13 Depth=1
                                        ;     Parent Loop BB5_61 Depth=2
                                        ;       Parent Loop BB5_91 Depth=3
                                        ;         Parent Loop BB5_94 Depth=4
                                        ; =>        This Inner Loop Header: Depth=5
	s_andn2_b64 vcc, exec, s[52:53]
	s_cbranch_vccnz .LBB5_98
; %bb.97:                               ;   in Loop: Header=BB5_96 Depth=5
	v_add_u32_e32 v12, s17, v11
	s_cbranch_execnz .LBB5_95
	s_branch .LBB5_99
.LBB5_98:                               ;   in Loop: Header=BB5_96 Depth=5
                                        ; implicit-def: $vgpr12
.LBB5_99:                               ;   in Loop: Header=BB5_96 Depth=5
	s_add_i32 s62, s17, s51
	s_mul_i32 s62, s62, s31
	v_add_u32_e32 v12, s62, v10
	s_branch .LBB5_95
.LBB5_100:                              ;   in Loop: Header=BB5_94 Depth=4
	s_and_b64 vcc, exec, s[52:53]
	s_cbranch_vccz .LBB5_102
; %bb.101:                              ;   in Loop: Header=BB5_94 Depth=4
	v_add_u32_e32 v12, v32, v14
	s_cbranch_execnz .LBB5_93
	s_branch .LBB5_103
.LBB5_102:                              ;   in Loop: Header=BB5_94 Depth=4
                                        ; implicit-def: $vgpr12
.LBB5_103:                              ;   in Loop: Header=BB5_94 Depth=4
	v_add_u32_e32 v12, v32, v1
	v_mad_u64_u32 v[12:13], s[62:63], v12, s31, v[10:11]
	s_branch .LBB5_93
.LBB5_104:
	s_ashr_i32 s45, s44, 31
	s_lshl_b64 s[0:1], s[44:45], 2
	s_add_u32 s0, s22, s0
	s_addc_u32 s1, s23, s1
	v_mov_b32_e32 v1, 0
	s_waitcnt lgkmcnt(0)
	global_load_dword v1, v1, s[0:1]
	s_waitcnt vmcnt(0)
	v_subrev_u32_e32 v1, s34, v1
	v_cmp_ne_u32_e32 vcc, s30, v1
	s_cbranch_vccnz .LBB5_173
; %bb.105:
	v_and_b32_e32 v4, 0x3ff, v0
	v_cmp_gt_i32_e64 s[0:1], s31, v4
	v_lshlrev_b32_e32 v1, 2, v4
	s_and_saveexec_b64 s[16:17], s[0:1]
	s_cbranch_execz .LBB5_128
; %bb.106:
	v_bfe_u32 v6, v0, 10, 10
	v_add_u32_e32 v7, 1, v6
	v_max_i32_e32 v5, s31, v7
	v_sub_u32_e32 v8, v5, v6
	v_add_u32_e32 v9, -2, v8
	s_cmp_eq_u32 s46, 0
	s_mul_i32 s35, s44, s31
	v_lshrrev_b32_e32 v5, 1, v9
	v_and_b32_e32 v11, -2, v8
	s_cselect_b64 s[14:15], -1, 0
	v_add_u32_e32 v10, 1, v5
	v_cmp_lt_u32_e64 s[6:7], 1, v8
	v_cmp_ne_u32_e64 s[12:13], v8, v11
	v_add_u32_e32 v8, s35, v4
	s_cmp_lg_u32 s46, 0
	v_add_u32_e32 v5, v6, v11
	v_and_b32_e32 v15, 3, v10
	s_movk_i32 s52, 0x104
	v_lshlrev_b32_e32 v13, 2, v4
	v_mul_lo_u32 v18, s31, v8
	v_cndmask_b32_e64 v8, 0, 1, s[14:15]
	v_cmp_gt_u32_e64 s[2:3], s31, v6
	s_cselect_b64 s[4:5], -1, 0
	s_mov_b32 s45, s35
	s_mov_b32 s47, s31
	v_cmp_lt_u32_e64 s[8:9], 5, v9
	v_and_b32_e32 v9, -4, v10
	v_cmp_ne_u32_e64 s[10:11], 0, v15
	v_mul_u32_u24_e32 v12, 0x104, v6
	v_mad_u32_u24 v14, v6, s52, v13
	v_mul_u32_u24_e32 v15, 0x208, v15
	s_lshl_b32 s53, s31, 6
	s_mov_b64 s[18:19], 0
	v_mul_lo_u32 v19, v5, s52
	v_cmp_ne_u32_e64 s[14:15], 1, v8
	v_mov_b32_e32 v20, s25
	v_mov_b32_e32 v8, v4
	s_branch .LBB5_108
.LBB5_107:                              ;   in Loop: Header=BB5_108 Depth=1
	s_or_b64 exec, exec, s[20:21]
	v_add_u32_e32 v8, 64, v8
	v_cmp_le_i32_e32 vcc, s31, v8
	v_add_u32_e32 v14, 0x100, v14
	v_add_u32_e32 v18, s53, v18
	s_or_b64 s[18:19], vcc, s[18:19]
	v_add_u32_e32 v13, 0x100, v13
	s_andn2_b64 exec, exec, s[18:19]
	s_cbranch_execz .LBB5_128
.LBB5_108:                              ; =>This Loop Header: Depth=1
                                        ;     Child Loop BB5_112 Depth 2
                                        ;     Child Loop BB5_116 Depth 2
	;; [unrolled: 1-line block ×3, first 2 shown]
	s_and_saveexec_b64 s[20:21], s[2:3]
	s_cbranch_execz .LBB5_107
; %bb.109:                              ;   in Loop: Header=BB5_108 Depth=1
	s_mov_b64 s[26:27], -1
	v_mov_b32_e32 v21, v6
	v_mov_b32_e32 v10, v12
	s_and_saveexec_b64 s[22:23], s[6:7]
	s_cbranch_execz .LBB5_120
; %bb.110:                              ;   in Loop: Header=BB5_108 Depth=1
	v_add_u32_e32 v10, s35, v8
	v_mul_lo_u32 v21, v10, s31
	v_mov_b32_e32 v24, 0
	v_pk_mov_b32 v[10:11], v[6:7], v[6:7] op_sel:[0,1]
	s_and_saveexec_b64 s[26:27], s[8:9]
	s_cbranch_execz .LBB5_114
; %bb.111:                              ;   in Loop: Header=BB5_108 Depth=1
	s_mov_b32 s54, 0
	s_mov_b64 s[50:51], 0
	v_mov_b32_e32 v22, v9
	v_mov_b32_e32 v23, v14
	v_pk_mov_b32 v[10:11], v[6:7], v[6:7] op_sel:[0,1]
.LBB5_112:                              ;   Parent Loop BB5_108 Depth=1
                                        ; =>  This Inner Loop Header: Depth=2
	v_add_u32_e32 v26, s35, v10
	v_add_u32_e32 v24, s45, v11
	;; [unrolled: 1-line block ×4, first 2 shown]
	v_mad_u64_u32 v[26:27], s[56:57], v26, s31, v[8:9]
	v_add_u32_e32 v28, v11, v21
	v_mad_u64_u32 v[24:25], s[56:57], v24, s47, v[8:9]
	v_add_u32_e32 v27, s45, v30
	v_cndmask_b32_e64 v26, v29, v26, s[4:5]
	v_add_u32_e32 v31, 2, v10
	v_cndmask_b32_e64 v24, v28, v24, s[4:5]
	v_mad_u64_u32 v[28:29], s[56:57], v27, s47, v[8:9]
	v_ashrrev_i32_e32 v27, 31, v26
	v_add_u32_e32 v25, s35, v31
	v_lshlrev_b64 v[26:27], 2, v[26:27]
	v_add_u32_e32 v40, v30, v21
	v_add_u32_e32 v41, v31, v21
	v_mad_u64_u32 v[30:31], s[56:57], v25, s31, v[8:9]
	v_ashrrev_i32_e32 v25, 31, v24
	v_add_co_u32_e32 v26, vcc, s24, v26
	v_cndmask_b32_e64 v30, v41, v30, s[4:5]
	v_lshlrev_b64 v[24:25], 2, v[24:25]
	v_addc_co_u32_e32 v27, vcc, v20, v27, vcc
	v_add_u32_e32 v33, 4, v10
	v_ashrrev_i32_e32 v31, 31, v30
	v_add_co_u32_e32 v24, vcc, s24, v24
	v_add_u32_e32 v34, 6, v11
	v_add_u32_e32 v35, 6, v10
	;; [unrolled: 1-line block ×3, first 2 shown]
	v_cndmask_b32_e64 v28, v40, v28, s[4:5]
	v_addc_co_u32_e32 v25, vcc, v20, v25, vcc
	v_lshlrev_b64 v[30:31], 2, v[30:31]
	v_add_u32_e32 v32, 4, v11
	v_add_u32_e32 v43, v33, v21
	;; [unrolled: 1-line block ×6, first 2 shown]
	v_mad_u64_u32 v[34:35], s[56:57], v36, s31, v[8:9]
	v_ashrrev_i32_e32 v29, 31, v28
	v_add_co_u32_e32 v30, vcc, s24, v30
	v_add_u32_e32 v37, s45, v32
	v_cndmask_b32_e64 v34, v43, v34, s[4:5]
	v_lshlrev_b64 v[28:29], 2, v[28:29]
	v_addc_co_u32_e32 v31, vcc, v20, v31, vcc
	v_add_u32_e32 v42, v32, v21
	v_mad_u64_u32 v[32:33], s[56:57], v37, s47, v[8:9]
	v_ashrrev_i32_e32 v35, 31, v34
	v_add_co_u32_e32 v28, vcc, s24, v28
	v_cndmask_b32_e64 v32, v42, v32, s[4:5]
	v_lshlrev_b64 v[34:35], 2, v[34:35]
	v_addc_co_u32_e32 v29, vcc, v20, v29, vcc
	v_mad_u64_u32 v[36:37], s[56:57], v39, s47, v[8:9]
	v_mad_u64_u32 v[38:39], s[56:57], v38, s31, v[8:9]
	v_ashrrev_i32_e32 v33, 31, v32
	v_add_co_u32_e32 v34, vcc, s24, v34
	v_cndmask_b32_e64 v38, v45, v38, s[4:5]
	v_lshlrev_b64 v[32:33], 2, v[32:33]
	v_addc_co_u32_e32 v35, vcc, v20, v35, vcc
	v_ashrrev_i32_e32 v39, 31, v38
	v_add_co_u32_e32 v32, vcc, s24, v32
	v_cndmask_b32_e64 v36, v44, v36, s[4:5]
	v_lshlrev_b64 v[38:39], 2, v[38:39]
	v_addc_co_u32_e32 v33, vcc, v20, v33, vcc
	v_ashrrev_i32_e32 v37, 31, v36
	v_add_co_u32_e32 v38, vcc, s24, v38
	v_lshlrev_b64 v[36:37], 2, v[36:37]
	v_addc_co_u32_e32 v39, vcc, v20, v39, vcc
	v_add_co_u32_e32 v36, vcc, s24, v36
	v_addc_co_u32_e32 v37, vcc, v20, v37, vcc
	global_load_dword v26, v[26:27], off
	s_nop 0
	global_load_dword v25, v[24:25], off
	s_nop 0
	;; [unrolled: 2-line block ×4, first 2 shown]
	global_load_dword v29, v[34:35], off
	global_load_dword v30, v[32:33], off
	;; [unrolled: 1-line block ×3, first 2 shown]
	s_nop 0
	global_load_dword v32, v[36:37], off
	v_add_u32_e32 v22, -4, v22
	s_add_i32 s54, s54, 8
	v_cmp_eq_u32_e32 vcc, 0, v22
	v_add_u32_e32 v33, 0x400, v23
	v_add_u32_e32 v11, 8, v11
	;; [unrolled: 1-line block ×3, first 2 shown]
	v_mov_b32_e32 v24, s54
	s_or_b64 s[50:51], vcc, s[50:51]
	s_waitcnt vmcnt(6)
	ds_write2_b32 v23, v26, v25 offset1:65
	s_waitcnt vmcnt(4)
	ds_write2_b32 v23, v27, v28 offset0:130 offset1:195
	s_waitcnt vmcnt(2)
	ds_write2_b32 v33, v29, v30 offset0:4 offset1:69
	;; [unrolled: 2-line block ×3, first 2 shown]
	v_add_u32_e32 v23, 0x820, v23
	s_andn2_b64 exec, exec, s[50:51]
	s_cbranch_execnz .LBB5_112
; %bb.113:                              ;   in Loop: Header=BB5_108 Depth=1
	s_or_b64 exec, exec, s[50:51]
.LBB5_114:                              ;   in Loop: Header=BB5_108 Depth=1
	s_or_b64 exec, exec, s[26:27]
	s_and_saveexec_b64 s[26:27], s[10:11]
	s_cbranch_execz .LBB5_117
; %bb.115:                              ;   in Loop: Header=BB5_108 Depth=1
	v_mul_lo_u32 v22, v24, s52
	s_mov_b64 s[50:51], 0
	v_mov_b32_e32 v23, v15
.LBB5_116:                              ;   Parent Loop BB5_108 Depth=1
                                        ; =>  This Inner Loop Header: Depth=2
	v_add_u32_e32 v26, s35, v10
	v_add_u32_e32 v29, v10, v21
	v_mad_u64_u32 v[26:27], s[54:55], v26, s31, v[8:9]
	v_add_u32_e32 v24, s45, v11
	v_cndmask_b32_e64 v26, v29, v26, s[4:5]
	v_add_u32_e32 v28, v11, v21
	v_mad_u64_u32 v[24:25], s[54:55], v24, s47, v[8:9]
	v_ashrrev_i32_e32 v27, 31, v26
	v_cndmask_b32_e64 v24, v28, v24, s[4:5]
	v_lshlrev_b64 v[26:27], 2, v[26:27]
	v_ashrrev_i32_e32 v25, 31, v24
	v_add_co_u32_e32 v26, vcc, s24, v26
	v_lshlrev_b64 v[24:25], 2, v[24:25]
	v_addc_co_u32_e32 v27, vcc, v20, v27, vcc
	v_add_co_u32_e32 v24, vcc, s24, v24
	v_addc_co_u32_e32 v25, vcc, v20, v25, vcc
	global_load_dword v26, v[26:27], off
	s_nop 0
	global_load_dword v24, v[24:25], off
	v_add_u32_e32 v23, 0xfffffdf8, v23
	v_cmp_eq_u32_e32 vcc, 0, v23
	v_add_u32_e32 v25, v14, v22
	v_add_u32_e32 v11, 2, v11
	v_add_u32_e32 v10, 2, v10
	v_add_u32_e32 v22, 0x208, v22
	s_or_b64 s[50:51], vcc, s[50:51]
	s_waitcnt vmcnt(0)
	ds_write2_b32 v25, v26, v24 offset1:65
	s_andn2_b64 exec, exec, s[50:51]
	s_cbranch_execnz .LBB5_116
.LBB5_117:                              ;   in Loop: Header=BB5_108 Depth=1
	s_or_b64 exec, exec, s[26:27]
	s_mov_b64 s[26:27], 0
	s_and_saveexec_b64 s[50:51], s[12:13]
	s_xor_b64 s[50:51], exec, s[50:51]
; %bb.118:                              ;   in Loop: Header=BB5_108 Depth=1
	s_mov_b64 s[26:27], exec
; %bb.119:                              ;   in Loop: Header=BB5_108 Depth=1
	s_or_b64 exec, exec, s[50:51]
	s_orn2_b64 s[26:27], s[26:27], exec
	v_mov_b32_e32 v21, v5
	v_mov_b32_e32 v10, v19
.LBB5_120:                              ;   in Loop: Header=BB5_108 Depth=1
	s_or_b64 exec, exec, s[22:23]
	s_and_b64 exec, exec, s[26:27]
	s_cbranch_execz .LBB5_107
; %bb.121:                              ;   in Loop: Header=BB5_108 Depth=1
	v_add_u32_e32 v22, v13, v10
	s_mov_b64 s[22:23], 0
	s_branch .LBB5_123
.LBB5_122:                              ;   in Loop: Header=BB5_123 Depth=2
	v_ashrrev_i32_e32 v11, 31, v10
	v_lshlrev_b64 v[10:11], 2, v[10:11]
	v_add_co_u32_e32 v10, vcc, s24, v10
	v_addc_co_u32_e32 v11, vcc, v20, v11, vcc
	global_load_dword v10, v[10:11], off
	v_add_u32_e32 v21, 1, v21
	v_cmp_le_i32_e32 vcc, s31, v21
	s_or_b64 s[22:23], vcc, s[22:23]
	s_waitcnt vmcnt(0)
	ds_write_b32 v22, v10
	v_add_u32_e32 v22, 0x104, v22
	s_andn2_b64 exec, exec, s[22:23]
	s_cbranch_execz .LBB5_107
.LBB5_123:                              ;   Parent Loop BB5_108 Depth=1
                                        ; =>  This Inner Loop Header: Depth=2
	s_and_b64 vcc, exec, s[14:15]
	s_cbranch_vccnz .LBB5_125
; %bb.124:                              ;   in Loop: Header=BB5_123 Depth=2
	v_add_u32_e32 v10, v18, v21
	s_cbranch_execnz .LBB5_122
	s_branch .LBB5_126
.LBB5_125:                              ;   in Loop: Header=BB5_123 Depth=2
                                        ; implicit-def: $vgpr10
.LBB5_126:                              ;   in Loop: Header=BB5_123 Depth=2
	v_add_u32_e32 v10, s35, v21
	v_mad_u64_u32 v[10:11], s[26:27], v10, s31, v[8:9]
	s_branch .LBB5_122
.LBB5_127:
	s_mov_b64 s[42:43], -1
	s_branch .LBB5_222
.LBB5_128:
	s_or_b64 exec, exec, s[16:17]
	s_cmp_lt_i32 s31, 1
	s_waitcnt lgkmcnt(0)
	s_cbranch_scc1 .LBB5_150
; %bb.129:
	s_cmp_eq_u64 s[36:37], 8
	v_cvt_f64_f32_e32 v[6:7], v17
	s_cselect_b64 vcc, -1, 0
	v_bfe_u32 v5, v0, 10, 10
	v_cndmask_b32_e32 v2, v6, v2, vcc
	v_or_b32_e32 v6, v4, v5
	s_movk_i32 s6, 0x104
	v_cndmask_b32_e64 v8, 0, 1, s[48:49]
	v_cndmask_b32_e32 v3, v7, v3, vcc
	s_mov_b32 s18, 0
	v_cmp_eq_u32_e64 s[2:3], 0, v6
	v_cmp_eq_u32_e64 s[4:5], 0, v5
	v_lshlrev_b32_e32 v6, 2, v4
	v_mad_u32_u24 v7, v5, s6, s6
	v_cmp_ne_u32_e64 s[6:7], 1, v8
.LBB5_130:                              ; =>This Loop Header: Depth=1
                                        ;     Child Loop BB5_142 Depth 2
                                        ;       Child Loop BB5_146 Depth 3
	s_lshl_b32 s8, s18, 2
	s_mul_i32 s19, s18, 0x104
	s_add_i32 s12, s19, s8
	v_mov_b32_e32 v8, s12
	s_waitcnt lgkmcnt(0)
	ds_read_b32 v9, v8
	s_and_b64 vcc, exec, s[6:7]
	s_mov_b64 s[8:9], 0
	s_cbranch_vccnz .LBB5_134
; %bb.131:                              ;   in Loop: Header=BB5_130 Depth=1
	s_waitcnt lgkmcnt(0)
	v_cmp_gt_f32_e32 vcc, 0, v9
	v_cndmask_b32_e64 v8, v9, -v9, vcc
	v_cvt_f64_f32_e32 v[10:11], v8
	v_cmp_ge_f64_e32 vcc, v[2:3], v[10:11]
	v_cndmask_b32_e32 v8, v9, v16, vcc
	s_and_saveexec_b64 s[10:11], s[2:3]
	s_cbranch_execz .LBB5_133
; %bb.132:                              ;   in Loop: Header=BB5_130 Depth=1
	v_mov_b32_e32 v10, s12
	ds_write_b32 v10, v8
.LBB5_133:                              ;   in Loop: Header=BB5_130 Depth=1
	s_or_b64 exec, exec, s[10:11]
	s_mov_b64 s[10:11], -1
	s_cbranch_execz .LBB5_135
	s_branch .LBB5_136
.LBB5_134:                              ;   in Loop: Header=BB5_130 Depth=1
	s_mov_b64 s[10:11], 0
                                        ; implicit-def: $vgpr8
.LBB5_135:                              ;   in Loop: Header=BB5_130 Depth=1
	s_waitcnt lgkmcnt(0)
	v_cmp_neq_f32_e64 s[10:11], 0, v9
	s_mov_b64 s[8:9], -1
	v_mov_b32_e32 v8, v9
.LBB5_136:                              ;   in Loop: Header=BB5_130 Depth=1
	s_andn2_b64 vcc, exec, s[10:11]
                                        ; implicit-def: $sgpr20
	s_cbranch_vccz .LBB5_139
; %bb.137:                              ;   in Loop: Header=BB5_130 Depth=1
	s_andn2_b64 vcc, exec, s[8:9]
	s_cbranch_vccz .LBB5_148
.LBB5_138:                              ;   in Loop: Header=BB5_130 Depth=1
	s_cmp_eq_u32 s20, s31
	s_cbranch_scc0 .LBB5_149
	s_branch .LBB5_150
.LBB5_139:                              ;   in Loop: Header=BB5_130 Depth=1
	s_add_i32 s20, s18, 1
	s_waitcnt lgkmcnt(0)
	v_add_u32_e32 v9, s20, v4
	v_cmp_gt_i32_e32 vcc, s31, v9
	s_and_saveexec_b64 s[10:11], vcc
	s_cbranch_execz .LBB5_147
; %bb.140:                              ;   in Loop: Header=BB5_130 Depth=1
	v_add_u32_e32 v10, s20, v5
	s_mul_i32 s12, s18, 0x108
	v_cmp_gt_i32_e64 s[8:9], s31, v10
	v_add_u32_e32 v11, s12, v7
	s_mov_b64 s[12:13], 0
	v_mov_b32_e32 v12, v6
	s_branch .LBB5_142
.LBB5_141:                              ;   in Loop: Header=BB5_142 Depth=2
	s_or_b64 exec, exec, s[14:15]
	v_add_u32_e32 v9, 64, v9
	v_cmp_le_i32_e32 vcc, s31, v9
	s_or_b64 s[12:13], vcc, s[12:13]
	v_add_u32_e32 v12, 0x100, v12
	s_andn2_b64 exec, exec, s[12:13]
	s_cbranch_execz .LBB5_147
.LBB5_142:                              ;   Parent Loop BB5_130 Depth=1
                                        ; =>  This Loop Header: Depth=2
                                        ;       Child Loop BB5_146 Depth 3
	v_lshl_add_u32 v14, v9, 2, s19
	ds_read_b32 v13, v14
	s_waitcnt lgkmcnt(0)
	v_div_scale_f32 v15, s[14:15], v8, v8, v13
	v_rcp_f32_e32 v17, v15
	v_div_scale_f32 v18, vcc, v13, v8, v13
	v_fma_f32 v19, -v15, v17, 1.0
	v_fmac_f32_e32 v17, v19, v17
	v_mul_f32_e32 v19, v18, v17
	v_fma_f32 v20, -v15, v19, v18
	v_fmac_f32_e32 v19, v20, v17
	v_fma_f32 v15, -v15, v19, v18
	v_div_fmas_f32 v15, v15, v17, v19
	v_div_fixup_f32 v13, v15, v8, v13
	s_and_saveexec_b64 s[14:15], s[4:5]
	s_cbranch_execz .LBB5_144
; %bb.143:                              ;   in Loop: Header=BB5_142 Depth=2
	ds_write_b32 v14, v13
.LBB5_144:                              ;   in Loop: Header=BB5_142 Depth=2
	s_or_b64 exec, exec, s[14:15]
	s_and_saveexec_b64 s[14:15], s[8:9]
	s_cbranch_execz .LBB5_141
; %bb.145:                              ;   in Loop: Header=BB5_142 Depth=2
	s_mov_b64 s[16:17], 0
	v_mov_b32_e32 v14, v11
	v_mov_b32_e32 v15, v10
.LBB5_146:                              ;   Parent Loop BB5_130 Depth=1
                                        ;     Parent Loop BB5_142 Depth=2
                                        ; =>    This Inner Loop Header: Depth=3
	v_add_u32_e32 v17, v14, v12
	ds_read_b32 v18, v14
	ds_read_b32 v19, v17 offset:4
	v_add_u32_e32 v15, 1, v15
	v_cmp_le_i32_e32 vcc, s31, v15
	v_add_u32_e32 v14, 0x104, v14
	s_or_b64 s[16:17], vcc, s[16:17]
	s_waitcnt lgkmcnt(0)
	v_fma_f32 v18, -v13, v18, v19
	ds_write_b32 v17, v18 offset:4
	s_andn2_b64 exec, exec, s[16:17]
	s_cbranch_execnz .LBB5_146
	s_branch .LBB5_141
.LBB5_147:                              ;   in Loop: Header=BB5_130 Depth=1
	s_or_b64 exec, exec, s[10:11]
	s_cbranch_execnz .LBB5_138
.LBB5_148:                              ;   in Loop: Header=BB5_130 Depth=1
	s_add_i32 s20, s18, 1
	s_mov_b64 s[42:43], -1
	s_cmp_eq_u32 s20, s31
	s_cbranch_scc1 .LBB5_150
.LBB5_149:                              ;   in Loop: Header=BB5_130 Depth=1
	s_mov_b32 s18, s20
	s_branch .LBB5_130
.LBB5_150:
	s_waitcnt lgkmcnt(0)
	s_and_saveexec_b64 s[14:15], s[0:1]
	s_cbranch_execz .LBB5_172
; %bb.151:
	v_bfe_u32 v2, v0, 10, 10
	v_add_u32_e32 v3, 1, v2
	v_max_i32_e32 v5, s31, v3
	v_sub_u32_e32 v6, v5, v2
	v_add_u32_e32 v7, -2, v6
	s_cmp_eq_u32 s46, 0
	s_mul_i32 s35, s44, s31
	v_lshrrev_b32_e32 v5, 1, v7
	v_and_b32_e32 v9, -2, v6
	s_cselect_b64 s[12:13], -1, 0
	v_add_u32_e32 v8, 1, v5
	v_cmp_lt_u32_e64 s[4:5], 1, v6
	v_cmp_ne_u32_e64 s[10:11], v6, v9
	v_add_u32_e32 v6, s35, v4
	s_cmp_lg_u32 s46, 0
	v_add_u32_e32 v5, v2, v9
	v_and_b32_e32 v11, 3, v8
	s_movk_i32 s45, 0x104
	v_mul_lo_u32 v12, s31, v6
	v_cndmask_b32_e64 v6, 0, 1, s[12:13]
	v_cmp_gt_u32_e64 s[0:1], s31, v2
	s_cselect_b64 s[2:3], -1, 0
	s_mov_b32 s36, s35
	s_mov_b32 s37, s31
	v_cmp_lt_u32_e64 s[6:7], 5, v7
	v_and_b32_e32 v8, -4, v8
	v_cmp_ne_u32_e64 s[8:9], 0, v11
	v_mul_u32_u24_e32 v9, 0x104, v2
	v_mad_u32_u24 v10, v2, s45, v1
	v_mul_u32_u24_e32 v11, 0x208, v11
	s_lshl_b32 s47, s31, 6
	s_mov_b64 s[16:17], 0
	v_mul_lo_u32 v13, v5, s45
	v_cmp_ne_u32_e64 s[12:13], 1, v6
	v_mov_b32_e32 v14, s25
	s_branch .LBB5_153
.LBB5_152:                              ;   in Loop: Header=BB5_153 Depth=1
	s_or_b64 exec, exec, s[18:19]
	v_add_u32_e32 v4, 64, v4
	v_cmp_le_i32_e32 vcc, s31, v4
	v_add_u32_e32 v10, 0x100, v10
	v_add_u32_e32 v12, s47, v12
	s_or_b64 s[16:17], vcc, s[16:17]
	v_add_u32_e32 v1, 0x100, v1
	s_andn2_b64 exec, exec, s[16:17]
	s_cbranch_execz .LBB5_172
.LBB5_153:                              ; =>This Loop Header: Depth=1
                                        ;     Child Loop BB5_157 Depth 2
                                        ;     Child Loop BB5_161 Depth 2
	;; [unrolled: 1-line block ×3, first 2 shown]
	s_and_saveexec_b64 s[18:19], s[0:1]
	s_cbranch_execz .LBB5_152
; %bb.154:                              ;   in Loop: Header=BB5_153 Depth=1
	s_mov_b64 s[22:23], -1
	v_mov_b32_e32 v15, v2
	v_mov_b32_e32 v6, v9
	s_and_saveexec_b64 s[20:21], s[4:5]
	s_cbranch_execz .LBB5_165
; %bb.155:                              ;   in Loop: Header=BB5_153 Depth=1
	v_add_u32_e32 v6, s35, v4
	v_mul_lo_u32 v15, v6, s31
	v_mov_b32_e32 v18, 0
	v_pk_mov_b32 v[6:7], v[2:3], v[2:3] op_sel:[0,1]
	s_and_saveexec_b64 s[22:23], s[6:7]
	s_cbranch_execz .LBB5_159
; %bb.156:                              ;   in Loop: Header=BB5_153 Depth=1
	s_mov_b32 s48, 0
	s_mov_b64 s[26:27], 0
	v_mov_b32_e32 v16, v8
	v_mov_b32_e32 v17, v10
	v_pk_mov_b32 v[6:7], v[2:3], v[2:3] op_sel:[0,1]
.LBB5_157:                              ;   Parent Loop BB5_153 Depth=1
                                        ; =>  This Inner Loop Header: Depth=2
	v_add_u32_e32 v18, s35, v6
	v_add_u32_e32 v33, v6, v15
	;; [unrolled: 1-line block ×3, first 2 shown]
	v_mad_u64_u32 v[26:27], s[50:51], v18, s31, v[4:5]
	v_add_u32_e32 v19, s36, v7
	v_add_u32_e32 v27, s35, v31
	v_cndmask_b32_e64 v26, v33, v26, s[2:3]
	v_add_u32_e32 v32, v7, v15
	v_add_u32_e32 v28, 2, v7
	;; [unrolled: 1-line block ×3, first 2 shown]
	v_add_u32_e32 v16, -4, v16
	v_mad_u64_u32 v[24:25], s[50:51], v19, s37, v[4:5]
	v_mad_u64_u32 v[38:39], s[50:51], v27, s31, v[4:5]
	v_ashrrev_i32_e32 v27, 31, v26
	ds_read2_b32 v[20:21], v17 offset1:65
	v_add_u32_e32 v30, 4, v7
	v_add_u32_e32 v34, 0x400, v17
	;; [unrolled: 1-line block ×3, first 2 shown]
	s_add_i32 s48, s48, 8
	v_add_u32_e32 v19, s35, v29
	v_add_u32_e32 v25, s36, v28
	v_cmp_eq_u32_e32 vcc, 0, v16
	v_cndmask_b32_e64 v24, v32, v24, s[2:3]
	v_lshlrev_b64 v[26:27], 2, v[26:27]
	v_add_u32_e32 v44, v28, v15
	v_add_u32_e32 v45, v29, v15
	ds_read2_b32 v[28:29], v34 offset0:4 offset1:69
	v_add_u32_e32 v37, s36, v30
	v_add_u32_e32 v46, v30, v15
	;; [unrolled: 1-line block ×3, first 2 shown]
	ds_read2_b32 v[30:31], v34 offset0:134 offset1:199
	v_add_u32_e32 v40, s36, v35
	v_add_u32_e32 v48, v35, v15
	v_mad_u64_u32 v[32:33], s[50:51], v25, s37, v[4:5]
	v_mad_u64_u32 v[34:35], s[50:51], v19, s31, v[4:5]
	s_or_b64 s[26:27], vcc, s[26:27]
	v_ashrrev_i32_e32 v25, 31, v24
	v_add_co_u32_e32 v26, vcc, s24, v26
	v_cndmask_b32_e64 v34, v45, v34, s[2:3]
	v_lshlrev_b64 v[24:25], 2, v[24:25]
	v_addc_co_u32_e32 v27, vcc, v14, v27, vcc
	v_ashrrev_i32_e32 v35, 31, v34
	v_add_co_u32_e32 v24, vcc, s24, v24
	v_cndmask_b32_e64 v32, v44, v32, s[2:3]
	v_addc_co_u32_e32 v25, vcc, v14, v25, vcc
	v_lshlrev_b64 v[34:35], 2, v[34:35]
	ds_read2_b32 v[22:23], v17 offset0:130 offset1:195
	v_ashrrev_i32_e32 v33, 31, v32
	s_waitcnt lgkmcnt(3)
	global_store_dword v[26:27], v20, off
	global_store_dword v[24:25], v21, off
	v_add_co_u32_e32 v20, vcc, s24, v34
	v_add_u32_e32 v36, 6, v6
	v_cndmask_b32_e64 v38, v47, v38, s[2:3]
	v_lshlrev_b64 v[32:33], 2, v[32:33]
	v_addc_co_u32_e32 v21, vcc, v14, v35, vcc
	v_add_u32_e32 v42, s35, v36
	v_add_u32_e32 v49, v36, v15
	v_mad_u64_u32 v[36:37], s[50:51], v37, s37, v[4:5]
	v_ashrrev_i32_e32 v39, 31, v38
	v_add_co_u32_e32 v24, vcc, s24, v32
	v_cndmask_b32_e64 v36, v46, v36, s[2:3]
	v_lshlrev_b64 v[38:39], 2, v[38:39]
	v_addc_co_u32_e32 v25, vcc, v14, v33, vcc
	v_mad_u64_u32 v[42:43], s[50:51], v42, s31, v[4:5]
	v_ashrrev_i32_e32 v37, 31, v36
	v_add_co_u32_e32 v26, vcc, s24, v38
	v_cndmask_b32_e64 v42, v49, v42, s[2:3]
	v_lshlrev_b64 v[36:37], 2, v[36:37]
	v_addc_co_u32_e32 v27, vcc, v14, v39, vcc
	;; [unrolled: 6-line block ×3, first 2 shown]
	v_ashrrev_i32_e32 v41, 31, v40
	v_add_co_u32_e32 v34, vcc, s24, v42
	v_lshlrev_b64 v[40:41], 2, v[40:41]
	v_addc_co_u32_e32 v35, vcc, v14, v43, vcc
	v_add_u32_e32 v7, 8, v7
	v_add_u32_e32 v6, 8, v6
	;; [unrolled: 1-line block ×3, first 2 shown]
	v_mov_b32_e32 v18, s48
	v_add_co_u32_e32 v36, vcc, s24, v40
	v_addc_co_u32_e32 v37, vcc, v14, v41, vcc
	s_waitcnt lgkmcnt(0)
	global_store_dword v[20:21], v22, off
	global_store_dword v[24:25], v23, off
	;; [unrolled: 1-line block ×6, first 2 shown]
	s_andn2_b64 exec, exec, s[26:27]
	s_cbranch_execnz .LBB5_157
; %bb.158:                              ;   in Loop: Header=BB5_153 Depth=1
	s_or_b64 exec, exec, s[26:27]
.LBB5_159:                              ;   in Loop: Header=BB5_153 Depth=1
	s_or_b64 exec, exec, s[22:23]
	s_and_saveexec_b64 s[22:23], s[8:9]
	s_cbranch_execz .LBB5_162
; %bb.160:                              ;   in Loop: Header=BB5_153 Depth=1
	v_mul_lo_u32 v16, v18, s45
	s_mov_b64 s[26:27], 0
	v_mov_b32_e32 v17, v11
.LBB5_161:                              ;   Parent Loop BB5_153 Depth=1
                                        ; =>  This Inner Loop Header: Depth=2
	v_add_u32_e32 v22, s35, v6
	v_add_u32_e32 v25, v6, v15
	v_mad_u64_u32 v[22:23], s[48:49], v22, s31, v[4:5]
	v_add_u32_e32 v18, v10, v16
	v_add_u32_e32 v20, s36, v7
	v_cndmask_b32_e64 v22, v25, v22, s[2:3]
	v_add_u32_e32 v24, v7, v15
	v_add_u32_e32 v17, 0xfffffdf8, v17
	ds_read2_b32 v[18:19], v18 offset1:65
	v_mad_u64_u32 v[20:21], s[48:49], v20, s37, v[4:5]
	v_ashrrev_i32_e32 v23, 31, v22
	v_cmp_eq_u32_e32 vcc, 0, v17
	v_cndmask_b32_e64 v20, v24, v20, s[2:3]
	v_lshlrev_b64 v[22:23], 2, v[22:23]
	s_or_b64 s[26:27], vcc, s[26:27]
	v_ashrrev_i32_e32 v21, 31, v20
	v_add_co_u32_e32 v22, vcc, s24, v22
	v_lshlrev_b64 v[20:21], 2, v[20:21]
	v_addc_co_u32_e32 v23, vcc, v14, v23, vcc
	v_add_u32_e32 v7, 2, v7
	v_add_u32_e32 v6, 2, v6
	;; [unrolled: 1-line block ×3, first 2 shown]
	v_add_co_u32_e32 v20, vcc, s24, v20
	v_addc_co_u32_e32 v21, vcc, v14, v21, vcc
	s_waitcnt lgkmcnt(0)
	global_store_dword v[22:23], v18, off
	global_store_dword v[20:21], v19, off
	s_andn2_b64 exec, exec, s[26:27]
	s_cbranch_execnz .LBB5_161
.LBB5_162:                              ;   in Loop: Header=BB5_153 Depth=1
	s_or_b64 exec, exec, s[22:23]
	s_mov_b64 s[22:23], 0
	s_and_saveexec_b64 s[26:27], s[10:11]
	s_xor_b64 s[26:27], exec, s[26:27]
; %bb.163:                              ;   in Loop: Header=BB5_153 Depth=1
	s_mov_b64 s[22:23], exec
; %bb.164:                              ;   in Loop: Header=BB5_153 Depth=1
	s_or_b64 exec, exec, s[26:27]
	s_orn2_b64 s[22:23], s[22:23], exec
	v_mov_b32_e32 v15, v5
	v_mov_b32_e32 v6, v13
.LBB5_165:                              ;   in Loop: Header=BB5_153 Depth=1
	s_or_b64 exec, exec, s[20:21]
	s_and_b64 exec, exec, s[22:23]
	s_cbranch_execz .LBB5_152
; %bb.166:                              ;   in Loop: Header=BB5_153 Depth=1
	v_add_u32_e32 v16, v1, v6
	s_mov_b64 s[20:21], 0
	s_branch .LBB5_168
.LBB5_167:                              ;   in Loop: Header=BB5_168 Depth=2
	v_ashrrev_i32_e32 v7, 31, v6
	v_lshlrev_b64 v[6:7], 2, v[6:7]
	v_add_co_u32_e32 v6, vcc, s24, v6
	v_addc_co_u32_e32 v7, vcc, v14, v7, vcc
	v_add_u32_e32 v15, 1, v15
	v_cmp_le_i32_e32 vcc, s31, v15
	s_or_b64 s[20:21], vcc, s[20:21]
	v_add_u32_e32 v16, 0x104, v16
	s_waitcnt lgkmcnt(0)
	global_store_dword v[6:7], v17, off
	s_andn2_b64 exec, exec, s[20:21]
	s_cbranch_execz .LBB5_152
.LBB5_168:                              ;   Parent Loop BB5_153 Depth=1
                                        ; =>  This Inner Loop Header: Depth=2
	ds_read_b32 v17, v16
	s_and_b64 vcc, exec, s[12:13]
	s_cbranch_vccnz .LBB5_170
; %bb.169:                              ;   in Loop: Header=BB5_168 Depth=2
	v_add_u32_e32 v6, v12, v15
	s_cbranch_execnz .LBB5_167
	s_branch .LBB5_171
.LBB5_170:                              ;   in Loop: Header=BB5_168 Depth=2
                                        ; implicit-def: $vgpr6
.LBB5_171:                              ;   in Loop: Header=BB5_168 Depth=2
	v_add_u32_e32 v6, s35, v15
	v_mad_u64_u32 v[6:7], s[22:23], v6, s31, v[4:5]
	s_branch .LBB5_167
.LBB5_172:
	s_or_b64 exec, exec, s[14:15]
.LBB5_173:
	s_add_i32 s35, s44, 1
	s_cmp_ge_i32 s35, s33
	s_cbranch_scc1 .LBB5_222
; %bb.174:
	v_bfe_u32 v2, v0, 10, 10
	v_sub_u32_e32 v1, s31, v2
	v_and_b32_e32 v10, 0x3ff, v0
	v_and_b32_e32 v11, -2, v1
	s_mul_i32 s14, s31, s35
	s_mul_i32 s44, s44, s31
	v_cmp_lt_u32_e64 s[6:7], 1, v1
	v_cmp_ne_u32_e64 s[8:9], v1, v11
	v_add_u32_e32 v1, s14, v10
	v_mul_lo_u32 v16, s31, v1
	v_add_u32_e32 v1, s44, v2
	s_cmp_eq_u32 s46, 0
	v_mul_lo_u32 v1, s31, v1
	s_cselect_b64 s[10:11], -1, 0
	s_cmp_gt_i32 s31, 0
	v_add_u32_e32 v17, s31, v1
	v_mul_u32_u24_e32 v1, 0x104, v10
	v_lshlrev_b32_e32 v4, 2, v2
	s_cselect_b64 s[12:13], -1, 0
	s_cmp_lg_u32 s46, 0
	v_add3_u32 v18, v1, v4, 4
	v_cndmask_b32_e64 v1, 0, 1, s[10:11]
	s_cselect_b64 s[4:5], -1, 0
	v_cmp_ne_u32_e64 s[10:11], 1, v1
	v_cndmask_b32_e64 v1, 0, 1, s[12:13]
	v_add_u32_e32 v12, v2, v11
	s_movk_i32 s46, 0x104
	v_lshlrev_b32_e32 v14, 2, v10
	v_cmp_ne_u32_e64 s[12:13], 1, v1
	v_cndmask_b32_e64 v1, 0, 1, s[4:5]
	v_cmp_gt_i32_e64 s[0:1], s31, v10
	v_cmp_gt_i32_e64 s[2:3], s31, v2
	v_add_u32_e32 v3, 1, v2
	s_mov_b32 s45, s31
	v_mul_u32_u24_e32 v13, 0x104, v2
	v_mad_u32_u24 v15, v2, s46, v14
	s_mul_i32 s47, s31, s31
	s_lshl_b32 s48, s31, 6
	s_add_i32 s49, s31, 1
	v_mul_lo_u32 v19, v12, s46
	v_cmp_ne_u32_e64 s[14:15], 1, v1
.LBB5_175:                              ; =>This Loop Header: Depth=1
                                        ;     Child Loop BB5_178 Depth 2
                                        ;       Child Loop BB5_181 Depth 3
                                        ;       Child Loop BB5_188 Depth 3
                                        ;     Child Loop BB5_195 Depth 2
                                        ;       Child Loop BB5_198 Depth 3
                                        ;         Child Loop BB5_201 Depth 4
                                        ;     Child Loop BB5_206 Depth 2
                                        ;       Child Loop BB5_209 Depth 3
                                        ;       Child Loop BB5_216 Depth 3
	s_mul_i32 s50, s35, s31
	s_and_saveexec_b64 s[16:17], s[0:1]
	s_cbranch_execz .LBB5_192
; %bb.176:                              ;   in Loop: Header=BB5_175 Depth=1
	s_mov_b32 s51, s50
	s_mov_b64 s[18:19], 0
	v_mov_b32_e32 v20, v14
	v_mov_b32_e32 v21, v16
	;; [unrolled: 1-line block ×4, first 2 shown]
	s_branch .LBB5_178
.LBB5_177:                              ;   in Loop: Header=BB5_178 Depth=2
	s_or_b64 exec, exec, s[20:21]
	v_add_u32_e32 v4, 64, v4
	v_cmp_le_i32_e32 vcc, s31, v4
	v_add_u32_e32 v22, 0x100, v22
	v_add_u32_e32 v21, s48, v21
	s_or_b64 s[18:19], vcc, s[18:19]
	v_add_u32_e32 v20, 0x100, v20
	s_andn2_b64 exec, exec, s[18:19]
	s_cbranch_execz .LBB5_192
.LBB5_178:                              ;   Parent Loop BB5_175 Depth=1
                                        ; =>  This Loop Header: Depth=2
                                        ;       Child Loop BB5_181 Depth 3
                                        ;       Child Loop BB5_188 Depth 3
	s_and_saveexec_b64 s[20:21], s[2:3]
	s_cbranch_execz .LBB5_177
; %bb.179:                              ;   in Loop: Header=BB5_178 Depth=2
	s_mov_b64 s[26:27], -1
	v_mov_b32_e32 v1, v2
	v_mov_b32_e32 v5, v13
	s_and_saveexec_b64 s[22:23], s[6:7]
	s_cbranch_execz .LBB5_185
; %bb.180:                              ;   in Loop: Header=BB5_178 Depth=2
	v_add_u32_e32 v1, s50, v4
	v_mul_lo_u32 v6, v1, s31
	v_mov_b32_e32 v5, v4
	v_mov_b32_e32 v1, v6
	s_mov_b64 s[26:27], 0
	v_mov_b32_e32 v7, v22
	v_mov_b32_e32 v23, v11
	v_pk_mov_b32 v[8:9], v[2:3], v[2:3] op_sel:[0,1]
.LBB5_181:                              ;   Parent Loop BB5_175 Depth=1
                                        ;     Parent Loop BB5_178 Depth=2
                                        ; =>    This Inner Loop Header: Depth=3
	v_add_u32_e32 v26, s50, v8
	v_add_u32_e32 v29, v8, v6
	v_mad_u64_u32 v[26:27], s[36:37], v26, s31, v[4:5]
	v_add_u32_e32 v25, s51, v9
	v_mov_b32_e32 v24, v5
	v_cndmask_b32_e64 v26, v29, v26, s[4:5]
	v_add_u32_e32 v28, v9, v1
	v_mad_u64_u32 v[24:25], s[36:37], v25, s45, v[24:25]
	v_ashrrev_i32_e32 v27, 31, v26
	v_cndmask_b32_e64 v24, v28, v24, s[4:5]
	v_lshlrev_b64 v[26:27], 2, v[26:27]
	v_mov_b32_e32 v30, s25
	v_ashrrev_i32_e32 v25, 31, v24
	v_add_co_u32_e32 v26, vcc, s24, v26
	v_lshlrev_b64 v[24:25], 2, v[24:25]
	v_addc_co_u32_e32 v27, vcc, v30, v27, vcc
	v_mov_b32_e32 v31, s25
	v_add_co_u32_e32 v24, vcc, s24, v24
	v_addc_co_u32_e32 v25, vcc, v31, v25, vcc
	global_load_dword v26, v[26:27], off
	s_nop 0
	global_load_dword v24, v[24:25], off
	v_add_u32_e32 v23, -2, v23
	v_cmp_eq_u32_e32 vcc, 0, v23
	v_add_u32_e32 v9, 2, v9
	v_add_u32_e32 v8, 2, v8
	s_or_b64 s[26:27], vcc, s[26:27]
	s_waitcnt vmcnt(0)
	ds_write2_b32 v7, v26, v24 offset1:65
	v_add_u32_e32 v7, 0x208, v7
	s_andn2_b64 exec, exec, s[26:27]
	s_cbranch_execnz .LBB5_181
; %bb.182:                              ;   in Loop: Header=BB5_178 Depth=2
	s_or_b64 exec, exec, s[26:27]
	s_mov_b64 s[26:27], 0
	s_and_saveexec_b64 s[36:37], s[8:9]
	s_xor_b64 s[36:37], exec, s[36:37]
; %bb.183:                              ;   in Loop: Header=BB5_178 Depth=2
	s_mov_b64 s[26:27], exec
; %bb.184:                              ;   in Loop: Header=BB5_178 Depth=2
	s_or_b64 exec, exec, s[36:37]
	s_orn2_b64 s[26:27], s[26:27], exec
	v_mov_b32_e32 v1, v12
	v_mov_b32_e32 v5, v19
.LBB5_185:                              ;   in Loop: Header=BB5_178 Depth=2
	s_or_b64 exec, exec, s[22:23]
	s_and_b64 exec, exec, s[26:27]
	s_cbranch_execz .LBB5_177
; %bb.186:                              ;   in Loop: Header=BB5_178 Depth=2
	v_add_u32_e32 v5, v20, v5
	s_mov_b64 s[22:23], 0
	s_branch .LBB5_188
.LBB5_187:                              ;   in Loop: Header=BB5_188 Depth=3
	v_ashrrev_i32_e32 v7, 31, v6
	v_lshlrev_b64 v[6:7], 2, v[6:7]
	v_mov_b32_e32 v8, s25
	v_add_co_u32_e32 v6, vcc, s24, v6
	v_addc_co_u32_e32 v7, vcc, v8, v7, vcc
	global_load_dword v6, v[6:7], off
	v_add_u32_e32 v1, 1, v1
	v_cmp_le_i32_e32 vcc, s31, v1
	s_or_b64 s[22:23], vcc, s[22:23]
	s_waitcnt vmcnt(0)
	ds_write_b32 v5, v6
	v_add_u32_e32 v5, 0x104, v5
	s_andn2_b64 exec, exec, s[22:23]
	s_cbranch_execz .LBB5_177
.LBB5_188:                              ;   Parent Loop BB5_175 Depth=1
                                        ;     Parent Loop BB5_178 Depth=2
                                        ; =>    This Inner Loop Header: Depth=3
	s_and_b64 vcc, exec, s[10:11]
	s_cbranch_vccnz .LBB5_190
; %bb.189:                              ;   in Loop: Header=BB5_188 Depth=3
	v_add_u32_e32 v6, v21, v1
	s_cbranch_execnz .LBB5_187
	s_branch .LBB5_191
.LBB5_190:                              ;   in Loop: Header=BB5_188 Depth=3
                                        ; implicit-def: $vgpr6
.LBB5_191:                              ;   in Loop: Header=BB5_188 Depth=3
	v_add_u32_e32 v6, s50, v1
	v_mad_u64_u32 v[6:7], s[26:27], v6, s31, v[4:5]
	s_branch .LBB5_187
.LBB5_192:                              ;   in Loop: Header=BB5_175 Depth=1
	s_or_b64 exec, exec, s[16:17]
	s_and_b64 vcc, exec, s[12:13]
	s_waitcnt lgkmcnt(0)
	s_cbranch_vccnz .LBB5_203
; %bb.193:                              ;   in Loop: Header=BB5_175 Depth=1
	s_mov_b32 s36, 0
	v_mov_b32_e32 v1, v18
	v_mov_b32_e32 v6, v17
	s_branch .LBB5_195
.LBB5_194:                              ;   in Loop: Header=BB5_195 Depth=2
	s_or_b64 exec, exec, s[18:19]
	s_add_i32 s36, s36, 1
	v_add_u32_e32 v6, s49, v6
	s_cmp_eq_u32 s36, s31
	v_add_u32_e32 v1, 4, v1
	s_cbranch_scc1 .LBB5_203
.LBB5_195:                              ;   Parent Loop BB5_175 Depth=1
                                        ; =>  This Loop Header: Depth=2
                                        ;       Child Loop BB5_198 Depth 3
                                        ;         Child Loop BB5_201 Depth 4
	s_and_saveexec_b64 s[18:19], s[0:1]
	s_cbranch_execz .LBB5_194
; %bb.196:                              ;   in Loop: Header=BB5_195 Depth=2
	v_add_u32_e32 v7, s36, v3
	s_add_i32 s37, s36, s44
	v_cmp_gt_i32_e64 s[16:17], s31, v7
	s_mul_i32 s37, s37, s31
	s_mov_b64 s[20:21], 0
	v_mov_b32_e32 v8, v1
	v_mov_b32_e32 v9, v10
	s_branch .LBB5_198
.LBB5_197:                              ;   in Loop: Header=BB5_198 Depth=3
	s_or_b64 exec, exec, s[22:23]
	v_add_u32_e32 v9, 64, v9
	v_cmp_le_i32_e32 vcc, s31, v9
	s_or_b64 s[20:21], vcc, s[20:21]
	v_add_u32_e32 v8, 0x4100, v8
	s_andn2_b64 exec, exec, s[20:21]
	s_cbranch_execz .LBB5_194
.LBB5_198:                              ;   Parent Loop BB5_175 Depth=1
                                        ;     Parent Loop BB5_195 Depth=2
                                        ; =>    This Loop Header: Depth=3
                                        ;         Child Loop BB5_201 Depth 4
	s_and_saveexec_b64 s[22:23], s[16:17]
	s_cbranch_execz .LBB5_197
; %bb.199:                              ;   in Loop: Header=BB5_198 Depth=3
	v_mul_lo_u32 v4, v9, s46
	v_lshl_add_u32 v20, s36, 2, v4
	s_mov_b64 s[26:27], 0
	v_mov_b32_e32 v21, v8
	v_mov_b32_e32 v22, v6
	;; [unrolled: 1-line block ×3, first 2 shown]
	s_branch .LBB5_201
.LBB5_200:                              ;   in Loop: Header=BB5_201 Depth=4
	v_ashrrev_i32_e32 v5, 31, v4
	v_lshlrev_b64 v[4:5], 2, v[4:5]
	v_mov_b32_e32 v24, s25
	v_add_co_u32_e32 v4, vcc, s24, v4
	v_addc_co_u32_e32 v5, vcc, v24, v5, vcc
	global_load_dword v4, v[4:5], off
	ds_read_b32 v5, v20
	ds_read_b32 v24, v21
	v_add_u32_e32 v23, 1, v23
	v_cmp_le_i32_e32 vcc, s31, v23
	v_add_u32_e32 v22, s31, v22
	s_or_b64 s[26:27], vcc, s[26:27]
	s_waitcnt vmcnt(0) lgkmcnt(0)
	v_fma_f32 v4, -v4, v5, v24
	ds_write_b32 v21, v4
	v_add_u32_e32 v21, 4, v21
	s_andn2_b64 exec, exec, s[26:27]
	s_cbranch_execz .LBB5_197
.LBB5_201:                              ;   Parent Loop BB5_175 Depth=1
                                        ;     Parent Loop BB5_195 Depth=2
                                        ;       Parent Loop BB5_198 Depth=3
                                        ; =>      This Inner Loop Header: Depth=4
	s_and_b64 vcc, exec, s[14:15]
	v_mov_b32_e32 v4, v22
	s_cbranch_vccnz .LBB5_200
; %bb.202:                              ;   in Loop: Header=BB5_201 Depth=4
	v_add_u32_e32 v4, s37, v23
	s_branch .LBB5_200
.LBB5_203:                              ;   in Loop: Header=BB5_175 Depth=1
	s_waitcnt lgkmcnt(0)
	s_and_saveexec_b64 s[16:17], s[0:1]
	s_cbranch_execz .LBB5_220
; %bb.204:                              ;   in Loop: Header=BB5_175 Depth=1
	s_mov_b32 s51, s50
	s_mov_b64 s[18:19], 0
	v_mov_b32_e32 v20, v14
	v_mov_b32_e32 v21, v16
	;; [unrolled: 1-line block ×4, first 2 shown]
	s_branch .LBB5_206
.LBB5_205:                              ;   in Loop: Header=BB5_206 Depth=2
	s_or_b64 exec, exec, s[20:21]
	v_add_u32_e32 v4, 64, v4
	v_cmp_le_i32_e32 vcc, s31, v4
	v_add_u32_e32 v22, 0x100, v22
	v_add_u32_e32 v21, s48, v21
	s_or_b64 s[18:19], vcc, s[18:19]
	v_add_u32_e32 v20, 0x100, v20
	s_andn2_b64 exec, exec, s[18:19]
	s_cbranch_execz .LBB5_220
.LBB5_206:                              ;   Parent Loop BB5_175 Depth=1
                                        ; =>  This Loop Header: Depth=2
                                        ;       Child Loop BB5_209 Depth 3
                                        ;       Child Loop BB5_216 Depth 3
	s_and_saveexec_b64 s[20:21], s[2:3]
	s_cbranch_execz .LBB5_205
; %bb.207:                              ;   in Loop: Header=BB5_206 Depth=2
	s_mov_b64 s[26:27], -1
	v_mov_b32_e32 v1, v2
	v_mov_b32_e32 v5, v13
	s_and_saveexec_b64 s[22:23], s[6:7]
	s_cbranch_execz .LBB5_213
; %bb.208:                              ;   in Loop: Header=BB5_206 Depth=2
	v_add_u32_e32 v1, s50, v4
	v_mul_lo_u32 v6, v1, s31
	v_mov_b32_e32 v5, v4
	v_mov_b32_e32 v1, v6
	s_mov_b64 s[26:27], 0
	v_mov_b32_e32 v7, v22
	v_mov_b32_e32 v23, v11
	v_pk_mov_b32 v[8:9], v[2:3], v[2:3] op_sel:[0,1]
.LBB5_209:                              ;   Parent Loop BB5_175 Depth=1
                                        ;     Parent Loop BB5_206 Depth=2
                                        ; =>    This Inner Loop Header: Depth=3
	v_add_u32_e32 v28, s50, v8
	v_add_u32_e32 v31, v8, v6
	v_mad_u64_u32 v[28:29], s[36:37], v28, s31, v[4:5]
	v_add_u32_e32 v27, s51, v9
	v_mov_b32_e32 v26, v5
	v_cndmask_b32_e64 v28, v31, v28, s[4:5]
	ds_read2_b32 v[24:25], v7 offset1:65
	v_add_u32_e32 v30, v9, v1
	v_add_u32_e32 v23, -2, v23
	v_mad_u64_u32 v[26:27], s[36:37], v27, s45, v[26:27]
	v_ashrrev_i32_e32 v29, 31, v28
	v_cmp_eq_u32_e32 vcc, 0, v23
	v_cndmask_b32_e64 v26, v30, v26, s[4:5]
	v_lshlrev_b64 v[28:29], 2, v[28:29]
	v_mov_b32_e32 v32, s25
	s_or_b64 s[26:27], vcc, s[26:27]
	v_ashrrev_i32_e32 v27, 31, v26
	v_add_co_u32_e32 v28, vcc, s24, v28
	v_lshlrev_b64 v[26:27], 2, v[26:27]
	v_addc_co_u32_e32 v29, vcc, v32, v29, vcc
	v_mov_b32_e32 v33, s25
	v_add_u32_e32 v9, 2, v9
	v_add_u32_e32 v8, 2, v8
	;; [unrolled: 1-line block ×3, first 2 shown]
	v_add_co_u32_e32 v26, vcc, s24, v26
	v_addc_co_u32_e32 v27, vcc, v33, v27, vcc
	s_waitcnt lgkmcnt(0)
	global_store_dword v[28:29], v24, off
	global_store_dword v[26:27], v25, off
	s_andn2_b64 exec, exec, s[26:27]
	s_cbranch_execnz .LBB5_209
; %bb.210:                              ;   in Loop: Header=BB5_206 Depth=2
	s_or_b64 exec, exec, s[26:27]
	s_mov_b64 s[26:27], 0
	s_and_saveexec_b64 s[36:37], s[8:9]
	s_xor_b64 s[36:37], exec, s[36:37]
; %bb.211:                              ;   in Loop: Header=BB5_206 Depth=2
	s_mov_b64 s[26:27], exec
; %bb.212:                              ;   in Loop: Header=BB5_206 Depth=2
	s_or_b64 exec, exec, s[36:37]
	s_orn2_b64 s[26:27], s[26:27], exec
	v_mov_b32_e32 v1, v12
	v_mov_b32_e32 v5, v19
.LBB5_213:                              ;   in Loop: Header=BB5_206 Depth=2
	s_or_b64 exec, exec, s[22:23]
	s_and_b64 exec, exec, s[26:27]
	s_cbranch_execz .LBB5_205
; %bb.214:                              ;   in Loop: Header=BB5_206 Depth=2
	v_add_u32_e32 v5, v20, v5
	s_mov_b64 s[22:23], 0
	s_branch .LBB5_216
.LBB5_215:                              ;   in Loop: Header=BB5_216 Depth=3
	v_ashrrev_i32_e32 v7, 31, v6
	v_lshlrev_b64 v[6:7], 2, v[6:7]
	v_mov_b32_e32 v9, s25
	v_add_co_u32_e32 v6, vcc, s24, v6
	v_addc_co_u32_e32 v7, vcc, v9, v7, vcc
	v_add_u32_e32 v1, 1, v1
	v_cmp_le_i32_e32 vcc, s31, v1
	s_or_b64 s[22:23], vcc, s[22:23]
	v_add_u32_e32 v5, 0x104, v5
	s_waitcnt lgkmcnt(0)
	global_store_dword v[6:7], v8, off
	s_andn2_b64 exec, exec, s[22:23]
	s_cbranch_execz .LBB5_205
.LBB5_216:                              ;   Parent Loop BB5_175 Depth=1
                                        ;     Parent Loop BB5_206 Depth=2
                                        ; =>    This Inner Loop Header: Depth=3
	ds_read_b32 v8, v5
	s_and_b64 vcc, exec, s[10:11]
	s_cbranch_vccnz .LBB5_218
; %bb.217:                              ;   in Loop: Header=BB5_216 Depth=3
	v_add_u32_e32 v6, v21, v1
	s_cbranch_execnz .LBB5_215
	s_branch .LBB5_219
.LBB5_218:                              ;   in Loop: Header=BB5_216 Depth=3
                                        ; implicit-def: $vgpr6
.LBB5_219:                              ;   in Loop: Header=BB5_216 Depth=3
	v_add_u32_e32 v6, s50, v1
	v_mad_u64_u32 v[6:7], s[26:27], v6, s31, v[4:5]
	s_branch .LBB5_215
.LBB5_220:                              ;   in Loop: Header=BB5_175 Depth=1
	s_or_b64 exec, exec, s[16:17]
; %bb.221:                              ;   in Loop: Header=BB5_175 Depth=1
	s_add_i32 s35, s35, 1
	s_cmp_ge_i32 s35, s33
	v_add_u32_e32 v16, s47, v16
	s_cbranch_scc0 .LBB5_175
.LBB5_222:
	v_and_b32_e32 v1, 0x3ff, v0
	v_bfe_u32 v0, v0, 10, 10
	v_or_b32_e32 v0, v1, v0
	v_cmp_eq_u32_e32 vcc, 0, v0
	s_and_saveexec_b64 s[0:1], vcc
	s_cbranch_execz .LBB5_226
; %bb.223:
	s_add_u32 s0, s28, s40
	s_addc_u32 s1, s29, s41
	v_mov_b32_e32 v0, 0
	v_mov_b32_e32 v1, 1
	s_andn2_b64 vcc, exec, s[42:43]
	s_waitcnt vmcnt(0)
	global_store_dword v0, v1, s[0:1]
	s_cbranch_vccnz .LBB5_226
; %bb.224:
	v_mbcnt_lo_u32_b32 v0, exec_lo, 0
	v_mbcnt_hi_u32_b32 v0, exec_hi, v0
	v_cmp_eq_u32_e32 vcc, 0, v0
	s_and_b64 exec, exec, vcc
	s_cbranch_execz .LBB5_226
; %bb.225:
	s_add_i32 s0, s30, s34
	v_mov_b32_e32 v0, 0
	v_mov_b32_e32 v1, s0
	global_atomic_smin v0, v1, s[38:39]
.LBB5_226:
	s_endpgm
	.section	.rodata,"a",@progbits
	.p2align	6, 0x0
	.amdhsa_kernel _ZN9rocsparseL13bsrilu0_33_64ILj64ELj64ELj64EfEEv20rocsparse_direction_iPKiS3_PT2_S3_iPiS3_S6_21rocsparse_index_base_imNS_24const_host_device_scalarIfEENS8_IdEENS8_IS4_EEb
		.amdhsa_group_segment_fixed_size 16640
		.amdhsa_private_segment_fixed_size 0
		.amdhsa_kernarg_size 116
		.amdhsa_user_sgpr_count 6
		.amdhsa_user_sgpr_private_segment_buffer 1
		.amdhsa_user_sgpr_dispatch_ptr 0
		.amdhsa_user_sgpr_queue_ptr 0
		.amdhsa_user_sgpr_kernarg_segment_ptr 1
		.amdhsa_user_sgpr_dispatch_id 0
		.amdhsa_user_sgpr_flat_scratch_init 0
		.amdhsa_user_sgpr_kernarg_preload_length 0
		.amdhsa_user_sgpr_kernarg_preload_offset 0
		.amdhsa_user_sgpr_private_segment_size 0
		.amdhsa_uses_dynamic_stack 0
		.amdhsa_system_sgpr_private_segment_wavefront_offset 0
		.amdhsa_system_sgpr_workgroup_id_x 1
		.amdhsa_system_sgpr_workgroup_id_y 0
		.amdhsa_system_sgpr_workgroup_id_z 0
		.amdhsa_system_sgpr_workgroup_info 0
		.amdhsa_system_vgpr_workitem_id 1
		.amdhsa_next_free_vgpr 50
		.amdhsa_next_free_sgpr 76
		.amdhsa_accum_offset 52
		.amdhsa_reserve_vcc 1
		.amdhsa_reserve_flat_scratch 0
		.amdhsa_float_round_mode_32 0
		.amdhsa_float_round_mode_16_64 0
		.amdhsa_float_denorm_mode_32 3
		.amdhsa_float_denorm_mode_16_64 3
		.amdhsa_dx10_clamp 1
		.amdhsa_ieee_mode 1
		.amdhsa_fp16_overflow 0
		.amdhsa_tg_split 0
		.amdhsa_exception_fp_ieee_invalid_op 0
		.amdhsa_exception_fp_denorm_src 0
		.amdhsa_exception_fp_ieee_div_zero 0
		.amdhsa_exception_fp_ieee_overflow 0
		.amdhsa_exception_fp_ieee_underflow 0
		.amdhsa_exception_fp_ieee_inexact 0
		.amdhsa_exception_int_div_zero 0
	.end_amdhsa_kernel
	.section	.text._ZN9rocsparseL13bsrilu0_33_64ILj64ELj64ELj64EfEEv20rocsparse_direction_iPKiS3_PT2_S3_iPiS3_S6_21rocsparse_index_base_imNS_24const_host_device_scalarIfEENS8_IdEENS8_IS4_EEb,"axG",@progbits,_ZN9rocsparseL13bsrilu0_33_64ILj64ELj64ELj64EfEEv20rocsparse_direction_iPKiS3_PT2_S3_iPiS3_S6_21rocsparse_index_base_imNS_24const_host_device_scalarIfEENS8_IdEENS8_IS4_EEb,comdat
.Lfunc_end5:
	.size	_ZN9rocsparseL13bsrilu0_33_64ILj64ELj64ELj64EfEEv20rocsparse_direction_iPKiS3_PT2_S3_iPiS3_S6_21rocsparse_index_base_imNS_24const_host_device_scalarIfEENS8_IdEENS8_IS4_EEb, .Lfunc_end5-_ZN9rocsparseL13bsrilu0_33_64ILj64ELj64ELj64EfEEv20rocsparse_direction_iPKiS3_PT2_S3_iPiS3_S6_21rocsparse_index_base_imNS_24const_host_device_scalarIfEENS8_IdEENS8_IS4_EEb
                                        ; -- End function
	.section	.AMDGPU.csdata,"",@progbits
; Kernel info:
; codeLenInByte = 7832
; NumSgprs: 80
; NumVgprs: 50
; NumAgprs: 0
; TotalNumVgprs: 50
; ScratchSize: 0
; MemoryBound: 0
; FloatMode: 240
; IeeeMode: 1
; LDSByteSize: 16640 bytes/workgroup (compile time only)
; SGPRBlocks: 9
; VGPRBlocks: 6
; NumSGPRsForWavesPerEU: 80
; NumVGPRsForWavesPerEU: 50
; AccumOffset: 52
; Occupancy: 1
; WaveLimiterHint : 1
; COMPUTE_PGM_RSRC2:SCRATCH_EN: 0
; COMPUTE_PGM_RSRC2:USER_SGPR: 6
; COMPUTE_PGM_RSRC2:TRAP_HANDLER: 0
; COMPUTE_PGM_RSRC2:TGID_X_EN: 1
; COMPUTE_PGM_RSRC2:TGID_Y_EN: 0
; COMPUTE_PGM_RSRC2:TGID_Z_EN: 0
; COMPUTE_PGM_RSRC2:TIDIG_COMP_CNT: 1
; COMPUTE_PGM_RSRC3_GFX90A:ACCUM_OFFSET: 12
; COMPUTE_PGM_RSRC3_GFX90A:TG_SPLIT: 0
	.section	.text._ZN9rocsparseL15bsrilu0_generalILj128ELj64ELb0EfEEv20rocsparse_direction_iPKiS3_PT2_S3_iPiS3_S6_21rocsparse_index_base_imNS_24const_host_device_scalarIfEENS8_IdEENS8_IS4_EEb,"axG",@progbits,_ZN9rocsparseL15bsrilu0_generalILj128ELj64ELb0EfEEv20rocsparse_direction_iPKiS3_PT2_S3_iPiS3_S6_21rocsparse_index_base_imNS_24const_host_device_scalarIfEENS8_IdEENS8_IS4_EEb,comdat
	.globl	_ZN9rocsparseL15bsrilu0_generalILj128ELj64ELb0EfEEv20rocsparse_direction_iPKiS3_PT2_S3_iPiS3_S6_21rocsparse_index_base_imNS_24const_host_device_scalarIfEENS8_IdEENS8_IS4_EEb ; -- Begin function _ZN9rocsparseL15bsrilu0_generalILj128ELj64ELb0EfEEv20rocsparse_direction_iPKiS3_PT2_S3_iPiS3_S6_21rocsparse_index_base_imNS_24const_host_device_scalarIfEENS8_IdEENS8_IS4_EEb
	.p2align	8
	.type	_ZN9rocsparseL15bsrilu0_generalILj128ELj64ELb0EfEEv20rocsparse_direction_iPKiS3_PT2_S3_iPiS3_S6_21rocsparse_index_base_imNS_24const_host_device_scalarIfEENS8_IdEENS8_IS4_EEb,@function
_ZN9rocsparseL15bsrilu0_generalILj128ELj64ELb0EfEEv20rocsparse_direction_iPKiS3_PT2_S3_iPiS3_S6_21rocsparse_index_base_imNS_24const_host_device_scalarIfEENS8_IdEENS8_IS4_EEb: ; @_ZN9rocsparseL15bsrilu0_generalILj128ELj64ELb0EfEEv20rocsparse_direction_iPKiS3_PT2_S3_iPiS3_S6_21rocsparse_index_base_imNS_24const_host_device_scalarIfEENS8_IdEENS8_IS4_EEb
; %bb.0:
	s_load_dword s0, s[4:5], 0x70
	s_load_dwordx2 s[28:29], s[4:5], 0x48
	s_load_dwordx8 s[20:27], s[4:5], 0x50
	s_waitcnt lgkmcnt(0)
	s_bitcmp1_b32 s0, 0
	s_cselect_b64 s[0:1], -1, 0
	s_cmp_lg_u32 s29, 0
	s_cselect_b64 s[34:35], -1, 0
	s_cmp_eq_u32 s29, 0
	s_cselect_b64 s[2:3], -1, 0
	s_and_b64 s[8:9], s[2:3], exec
	s_cselect_b32 s10, 0, s24
	s_cselect_b32 s11, 0, s25
	s_or_b64 s[0:1], s[2:3], s[0:1]
	s_xor_b64 s[8:9], s[0:1], -1
	s_and_b64 vcc, exec, s[0:1]
	s_cbranch_vccnz .LBB6_2
; %bb.1:
	s_load_dword s0, s[22:23], 0x0
	s_mov_b64 s[10:11], s[24:25]
	s_waitcnt lgkmcnt(0)
	v_mov_b32_e32 v25, s0
	s_branch .LBB6_3
.LBB6_2:
	v_mov_b32_e32 v1, s22
	v_cndmask_b32_e64 v25, v1, 0, s[2:3]
.LBB6_3:
	v_cndmask_b32_e64 v1, 0, 1, s[8:9]
	v_cmp_ne_u32_e64 s[0:1], 1, v1
	s_andn2_b64 vcc, exec, s[8:9]
	v_pk_mov_b32 v[8:9], s[10:11], s[10:11] op_sel:[0,1]
	s_cbranch_vccnz .LBB6_5
; %bb.4:
	v_pk_mov_b32 v[2:3], s[24:25], s[24:25] op_sel:[0,1]
	flat_load_dwordx2 v[8:9], v[2:3]
.LBB6_5:
	s_and_b64 vcc, exec, s[0:1]
	s_cbranch_vccnz .LBB6_7
; %bb.6:
	s_load_dword s0, s[26:27], 0x0
	s_waitcnt lgkmcnt(0)
	v_mov_b32_e32 v24, s0
	s_branch .LBB6_8
.LBB6_7:
	v_mov_b32_e32 v1, s26
	v_cndmask_b32_e64 v24, v1, 0, s[2:3]
.LBB6_8:
	s_load_dwordx2 s[30:31], s[4:5], 0x0
	s_lshl_b32 s0, s6, 1
	v_lshrrev_b32_e32 v1, 6, v0
	s_and_b32 s0, s0, 0x3fffffe
	v_or_b32_e32 v1, s0, v1
	s_waitcnt lgkmcnt(0)
	v_cmp_gt_i32_e32 vcc, s31, v1
	s_and_saveexec_b64 s[0:1], vcc
	s_cbranch_execz .LBB6_153
; %bb.9:
	s_load_dwordx4 s[24:27], s[4:5], 0x30
	s_load_dwordx2 s[22:23], s[4:5], 0x40
	v_lshlrev_b32_e32 v1, 2, v1
	s_load_dwordx8 s[12:19], s[4:5], 0x8
	v_and_b32_e32 v0, 63, v0
	s_waitcnt lgkmcnt(0)
	global_load_dword v2, v1, s[26:27]
	s_mov_b64 s[0:1], -1
	v_mov_b32_e32 v1, s19
	s_waitcnt vmcnt(0)
	v_ashrrev_i32_e32 v3, 31, v2
	v_lshlrev_b64 v[4:5], 2, v[2:3]
	v_add_co_u32_e32 v6, vcc, s18, v4
	v_addc_co_u32_e32 v7, vcc, v1, v5, vcc
	global_load_dword v6, v[6:7], off
	s_waitcnt vmcnt(0)
	v_cmp_ne_u32_e32 vcc, -1, v6
	s_and_saveexec_b64 s[26:27], vcc
	s_cbranch_execz .LBB6_147
; %bb.10:
	v_mov_b32_e32 v1, s13
	v_add_co_u32_e32 v10, vcc, s12, v4
	v_addc_co_u32_e32 v11, vcc, v1, v5, vcc
	global_load_dwordx2 v[10:11], v[10:11], off
	s_load_dword s29, s[4:5], 0x28
	s_mov_b64 s[6:7], 0
	s_waitcnt vmcnt(0)
	v_subrev_u32_e32 v10, s28, v10
	v_subrev_u32_e32 v1, s28, v11
	v_cmp_lt_i32_e32 vcc, v10, v6
	s_and_saveexec_b64 s[36:37], vcc
	s_cbranch_execz .LBB6_82
; %bb.11:
	s_waitcnt lgkmcnt(0)
	s_cmp_gt_i32 s29, 0
	s_cselect_b64 s[6:7], -1, 0
	s_cmp_lg_u32 s30, 0
	s_cselect_b64 s[38:39], -1, 0
	v_add_u32_e32 v12, v10, v0
	s_add_i32 s31, s31, 1
	v_ashrrev_i32_e32 v13, 31, v12
	s_add_u32 s33, s12, 4
	v_lshlrev_b64 v[14:15], 2, v[12:13]
	s_addc_u32 s60, s13, 0
	v_cndmask_b32_e64 v11, 0, 1, s[6:7]
	v_mov_b32_e32 v3, s15
	v_add_co_u32_e32 v14, vcc, s14, v14
	s_add_u32 s61, s14, 0x100
	v_mad_u64_u32 v[16:17], s[8:9], s29, v10, v[0:1]
	v_cmp_ne_u32_e64 s[6:7], 1, v11
	v_mbcnt_lo_u32_b32 v11, -1, 0
	v_cmp_gt_i32_e64 s[0:1], s29, v0
	v_cmp_le_i32_e64 s[2:3], s29, v0
	v_cmp_lt_i32_e64 s[4:5], v12, v1
	v_addc_co_u32_e32 v15, vcc, v3, v15, vcc
	s_addc_u32 s62, s15, 0
	v_mul_lo_u32 v7, s29, v16
	s_mul_i32 s63, s29, s29
	s_lshl_b32 s64, s29, 6
	s_mov_b64 s[44:45], 0
	s_mov_b64 s[12:13], 0
	v_mov_b32_e32 v13, s19
	v_mbcnt_hi_u32_b32 v26, -1, v11
                                        ; implicit-def: $sgpr40_sgpr41
                                        ; implicit-def: $sgpr42_sgpr43
	s_branch .LBB6_14
.LBB6_12:                               ;   in Loop: Header=BB6_14 Depth=1
	s_or_b64 exec, exec, s[10:11]
	s_andn2_b64 s[10:11], s[42:43], exec
	s_and_b64 s[42:43], s[44:45], exec
	s_or_b64 s[42:43], s[10:11], s[42:43]
.LBB6_13:                               ;   in Loop: Header=BB6_14 Depth=1
	s_or_b64 exec, exec, s[46:47]
	v_add_u32_e32 v10, 1, v10
	v_cmp_ge_i32_e32 vcc, v10, v6
	s_xor_b64 s[8:9], s[8:9], -1
	s_or_b64 s[8:9], s[8:9], vcc
	s_and_b64 s[8:9], exec, s[8:9]
	s_or_b64 s[12:13], s[8:9], s[12:13]
	s_andn2_b64 s[8:9], s[40:41], exec
	s_and_b64 s[10:11], s[42:43], exec
	v_add_u32_e32 v7, s63, v7
	s_or_b64 s[40:41], s[8:9], s[10:11]
	s_mov_b64 s[44:45], s[42:43]
	s_andn2_b64 exec, exec, s[12:13]
	s_cbranch_execz .LBB6_81
.LBB6_14:                               ; =>This Loop Header: Depth=1
                                        ;     Child Loop BB6_17 Depth 2
                                        ;     Child Loop BB6_22 Depth 2
                                        ;       Child Loop BB6_27 Depth 3
                                        ;         Child Loop BB6_37 Depth 4
                                        ;     Child Loop BB6_55 Depth 2
                                        ;       Child Loop BB6_60 Depth 3
                                        ;       Child Loop BB6_67 Depth 3
                                        ;         Child Loop BB6_70 Depth 4
                                        ;           Child Loop BB6_72 Depth 5
	v_ashrrev_i32_e32 v11, 31, v10
	v_lshlrev_b64 v[16:17], 2, v[10:11]
	v_add_co_u32_e32 v16, vcc, s14, v16
	v_addc_co_u32_e32 v17, vcc, v3, v17, vcc
	global_load_dword v11, v[16:17], off
	s_or_b64 s[42:43], s[42:43], exec
	s_waitcnt vmcnt(0)
	v_subrev_u32_e32 v16, s28, v11
	v_ashrrev_i32_e32 v17, 31, v16
	v_lshlrev_b64 v[16:17], 2, v[16:17]
	s_waitcnt lgkmcnt(0)
	v_add_co_u32_e32 v18, vcc, s18, v16
	v_addc_co_u32_e32 v19, vcc, v13, v17, vcc
	global_load_dword v19, v[18:19], off
	s_waitcnt vmcnt(0)
	v_cmp_ne_u32_e64 s[8:9], -1, v19
	s_and_saveexec_b64 s[46:47], s[8:9]
	s_cbranch_execz .LBB6_13
; %bb.15:                               ;   in Loop: Header=BB6_14 Depth=1
	v_mov_b32_e32 v11, s60
	v_add_co_u32_e32 v20, vcc, s33, v16
	v_addc_co_u32_e32 v21, vcc, v11, v17, vcc
	v_mov_b32_e32 v11, s25
	v_add_co_u32_e32 v16, vcc, s24, v16
	v_addc_co_u32_e32 v17, vcc, v11, v17, vcc
	global_load_dword v27, v[20:21], off
	global_load_dword v11, v[16:17], off glc
	s_waitcnt vmcnt(0)
	v_cmp_eq_u32_e32 vcc, 0, v11
	s_and_saveexec_b64 s[10:11], vcc
	s_cbranch_execz .LBB6_18
; %bb.16:                               ;   in Loop: Header=BB6_14 Depth=1
	s_mov_b64 s[48:49], 0
.LBB6_17:                               ;   Parent Loop BB6_14 Depth=1
                                        ; =>  This Inner Loop Header: Depth=2
	global_load_dword v11, v[16:17], off glc
	s_waitcnt vmcnt(0)
	v_cmp_ne_u32_e32 vcc, 0, v11
	s_or_b64 s[48:49], vcc, s[48:49]
	s_andn2_b64 exec, exec, s[48:49]
	s_cbranch_execnz .LBB6_17
.LBB6_18:                               ;   in Loop: Header=BB6_14 Depth=1
	s_or_b64 exec, exec, s[10:11]
	s_and_b64 vcc, exec, s[6:7]
	v_mul_lo_u32 v11, v10, s29
	buffer_wbinvl1_vol
	s_cbranch_vccnz .LBB6_51
; %bb.19:                               ;   in Loop: Header=BB6_14 Depth=1
	v_mul_lo_u32 v17, v19, s29
	s_mov_b64 s[48:49], 0
	v_mov_b32_e32 v16, 0
	s_branch .LBB6_22
.LBB6_20:                               ;   in Loop: Header=BB6_22 Depth=2
	s_or_b64 exec, exec, s[52:53]
	v_mov_b32_e32 v16, v28
.LBB6_21:                               ;   in Loop: Header=BB6_22 Depth=2
	s_or_b64 exec, exec, s[50:51]
	v_cmp_eq_u32_e32 vcc, s29, v16
	s_or_b64 s[48:49], vcc, s[48:49]
	s_andn2_b64 exec, exec, s[48:49]
	s_cbranch_execz .LBB6_50
.LBB6_22:                               ;   Parent Loop BB6_14 Depth=1
                                        ; =>  This Loop Header: Depth=2
                                        ;       Child Loop BB6_27 Depth 3
                                        ;         Child Loop BB6_37 Depth 4
	v_add_u32_e32 v28, 1, v16
	s_and_saveexec_b64 s[10:11], s[2:3]
	s_xor_b64 s[10:11], exec, s[10:11]
; %bb.23:                               ;   in Loop: Header=BB6_22 Depth=2
	v_add_u32_e32 v16, 1, v16
                                        ; implicit-def: $vgpr28
; %bb.24:                               ;   in Loop: Header=BB6_22 Depth=2
	s_andn2_saveexec_b64 s[50:51], s[10:11]
	s_cbranch_execz .LBB6_21
; %bb.25:                               ;   in Loop: Header=BB6_22 Depth=2
	v_add_u32_e32 v18, v16, v17
	v_mul_lo_u32 v29, v18, s29
	v_add_u32_e32 v20, v29, v16
	v_ashrrev_i32_e32 v21, 31, v20
	v_lshlrev_b64 v[20:21], 2, v[20:21]
	v_mov_b32_e32 v18, s17
	v_add_co_u32_e32 v20, vcc, s16, v20
	v_addc_co_u32_e32 v21, vcc, v18, v21, vcc
	global_load_dword v30, v[20:21], off
	v_add_u32_e32 v18, v16, v11
	v_mul_lo_u32 v31, v18, s29
	v_cmp_gt_i32_e64 s[10:11], s29, v28
	s_mov_b64 s[52:53], 0
	v_mov_b32_e32 v32, v7
	v_mov_b32_e32 v18, v0
	s_branch .LBB6_27
.LBB6_26:                               ;   in Loop: Header=BB6_27 Depth=3
	s_or_b64 exec, exec, s[54:55]
	v_add_u32_e32 v18, 64, v18
	v_cmp_le_i32_e32 vcc, s29, v18
	s_or_b64 s[52:53], vcc, s[52:53]
	v_add_u32_e32 v32, s64, v32
	s_andn2_b64 exec, exec, s[52:53]
	s_cbranch_execz .LBB6_20
.LBB6_27:                               ;   Parent Loop BB6_14 Depth=1
                                        ;     Parent Loop BB6_22 Depth=2
                                        ; =>    This Loop Header: Depth=3
                                        ;         Child Loop BB6_37 Depth 4
	s_and_b64 vcc, exec, s[38:39]
	v_add_u32_e32 v20, v18, v31
	s_cbranch_vccz .LBB6_48
; %bb.28:                               ;   in Loop: Header=BB6_27 Depth=3
	v_add_u32_e32 v22, v18, v31
	v_add_u32_e32 v21, v18, v11
	s_cbranch_execnz .LBB6_30
.LBB6_29:                               ;   in Loop: Header=BB6_27 Depth=3
	v_mad_u64_u32 v[22:23], s[54:55], v21, s29, v[16:17]
.LBB6_30:                               ;   in Loop: Header=BB6_27 Depth=3
	v_ashrrev_i32_e32 v23, 31, v22
	v_lshlrev_b64 v[22:23], 2, v[22:23]
	v_mov_b32_e32 v33, s17
	v_add_co_u32_e32 v22, vcc, s16, v22
	v_addc_co_u32_e32 v23, vcc, v33, v23, vcc
	global_load_dword v22, v[22:23], off
	s_and_b64 vcc, exec, s[38:39]
	s_cbranch_vccz .LBB6_49
; %bb.31:                               ;   in Loop: Header=BB6_27 Depth=3
	s_cbranch_execnz .LBB6_33
.LBB6_32:                               ;   in Loop: Header=BB6_27 Depth=3
	v_mad_u64_u32 v[20:21], s[54:55], v21, s29, v[16:17]
.LBB6_33:                               ;   in Loop: Header=BB6_27 Depth=3
	s_waitcnt vmcnt(0)
	v_div_scale_f32 v21, s[54:55], v30, v30, v22
	v_rcp_f32_e32 v23, v21
	v_div_scale_f32 v33, vcc, v22, v30, v22
	v_fma_f32 v34, -v21, v23, 1.0
	v_fmac_f32_e32 v23, v34, v23
	v_mul_f32_e32 v34, v33, v23
	v_fma_f32 v35, -v21, v34, v33
	v_fmac_f32_e32 v34, v35, v23
	v_fma_f32 v21, -v21, v34, v33
	v_div_fmas_f32 v21, v21, v23, v34
	v_div_fixup_f32 v22, v21, v30, v22
	v_ashrrev_i32_e32 v21, 31, v20
	v_lshlrev_b64 v[20:21], 2, v[20:21]
	v_mov_b32_e32 v23, s17
	v_add_co_u32_e32 v20, vcc, s16, v20
	v_addc_co_u32_e32 v21, vcc, v23, v21, vcc
	global_store_dword v[20:21], v22, off
	s_and_saveexec_b64 s[54:55], s[10:11]
	s_cbranch_execz .LBB6_26
; %bb.34:                               ;   in Loop: Header=BB6_27 Depth=3
	s_mov_b64 s[56:57], 0
	v_mov_b32_e32 v23, v28
	s_branch .LBB6_37
.LBB6_35:                               ;   in Loop: Header=BB6_37 Depth=4
	v_mov_b32_e32 v20, v35
.LBB6_36:                               ;   in Loop: Header=BB6_37 Depth=4
	v_ashrrev_i32_e32 v21, 31, v20
	v_lshlrev_b64 v[20:21], 2, v[20:21]
	v_mov_b32_e32 v34, s17
	v_add_co_u32_e32 v20, vcc, s16, v20
	v_addc_co_u32_e32 v21, vcc, v34, v21, vcc
	v_add_u32_e32 v23, 1, v23
	v_cmp_le_i32_e32 vcc, s29, v23
	s_waitcnt vmcnt(0)
	v_fma_f32 v33, -v22, v33, v36
	s_or_b64 s[56:57], vcc, s[56:57]
	global_store_dword v[20:21], v33, off
	s_andn2_b64 exec, exec, s[56:57]
	s_cbranch_execz .LBB6_26
.LBB6_37:                               ;   Parent Loop BB6_14 Depth=1
                                        ;     Parent Loop BB6_22 Depth=2
                                        ;       Parent Loop BB6_27 Depth=3
                                        ; =>      This Inner Loop Header: Depth=4
	s_and_b64 vcc, exec, s[38:39]
	s_cbranch_vccz .LBB6_45
; %bb.38:                               ;   in Loop: Header=BB6_37 Depth=4
	v_add_u32_e32 v20, v23, v17
	v_mad_u64_u32 v[20:21], s[58:59], v20, s29, v[16:17]
	s_cbranch_execnz .LBB6_40
.LBB6_39:                               ;   in Loop: Header=BB6_37 Depth=4
	v_add_u32_e32 v20, v29, v23
.LBB6_40:                               ;   in Loop: Header=BB6_37 Depth=4
	v_ashrrev_i32_e32 v21, 31, v20
	v_lshlrev_b64 v[20:21], 2, v[20:21]
	v_mov_b32_e32 v33, s17
	v_add_co_u32_e32 v20, vcc, s16, v20
	v_addc_co_u32_e32 v21, vcc, v33, v21, vcc
	global_load_dword v33, v[20:21], off
	s_and_b64 vcc, exec, s[38:39]
	v_add_u32_e32 v34, v23, v11
	s_cbranch_vccz .LBB6_46
; %bb.41:                               ;   in Loop: Header=BB6_37 Depth=4
	v_mad_u64_u32 v[20:21], s[58:59], v34, s29, v[18:19]
	v_add_u32_e32 v35, v32, v23
	s_cbranch_execnz .LBB6_43
.LBB6_42:                               ;   in Loop: Header=BB6_37 Depth=4
	v_add_u32_e32 v20, v32, v23
.LBB6_43:                               ;   in Loop: Header=BB6_37 Depth=4
	v_ashrrev_i32_e32 v21, 31, v20
	v_lshlrev_b64 v[20:21], 2, v[20:21]
	v_mov_b32_e32 v36, s17
	v_add_co_u32_e32 v20, vcc, s16, v20
	v_addc_co_u32_e32 v21, vcc, v36, v21, vcc
	global_load_dword v36, v[20:21], off
	s_and_b64 vcc, exec, s[38:39]
	s_cbranch_vccz .LBB6_47
; %bb.44:                               ;   in Loop: Header=BB6_37 Depth=4
	v_mad_u64_u32 v[20:21], s[58:59], v34, s29, v[18:19]
	s_cbranch_execnz .LBB6_36
	s_branch .LBB6_35
.LBB6_45:                               ;   in Loop: Header=BB6_37 Depth=4
                                        ; implicit-def: $vgpr20
	s_branch .LBB6_39
.LBB6_46:                               ;   in Loop: Header=BB6_37 Depth=4
                                        ; implicit-def: $vgpr20
	v_add_u32_e32 v35, v32, v23
	s_branch .LBB6_42
.LBB6_47:                               ;   in Loop: Header=BB6_37 Depth=4
                                        ; implicit-def: $vgpr20
	s_branch .LBB6_35
.LBB6_48:                               ;   in Loop: Header=BB6_27 Depth=3
                                        ; implicit-def: $vgpr22
	v_add_u32_e32 v21, v18, v11
	s_branch .LBB6_29
.LBB6_49:                               ;   in Loop: Header=BB6_27 Depth=3
                                        ; implicit-def: $vgpr20
	s_branch .LBB6_32
.LBB6_50:                               ;   in Loop: Header=BB6_14 Depth=1
	s_or_b64 exec, exec, s[48:49]
.LBB6_51:                               ;   in Loop: Header=BB6_14 Depth=1
	v_subrev_u32_e32 v22, s28, v27
	v_add_u32_e32 v16, 1, v19
	v_cmp_lt_i32_e32 vcc, v16, v22
	s_and_saveexec_b64 s[10:11], vcc
	s_cbranch_execz .LBB6_12
; %bb.52:                               ;   in Loop: Header=BB6_14 Depth=1
	v_mul_lo_u32 v23, s63, v16
	s_mov_b64 s[48:49], 0
	s_branch .LBB6_55
.LBB6_53:                               ;   in Loop: Header=BB6_55 Depth=2
	s_or_b64 exec, exec, s[50:51]
.LBB6_54:                               ;   in Loop: Header=BB6_55 Depth=2
	v_add_u32_e32 v16, 1, v16
	v_cmp_ge_i32_e32 vcc, v16, v22
	s_or_b64 s[48:49], vcc, s[48:49]
	v_add_u32_e32 v23, s63, v23
	s_andn2_b64 exec, exec, s[48:49]
	s_cbranch_execz .LBB6_12
.LBB6_55:                               ;   Parent Loop BB6_14 Depth=1
                                        ; =>  This Loop Header: Depth=2
                                        ;       Child Loop BB6_60 Depth 3
                                        ;       Child Loop BB6_67 Depth 3
                                        ;         Child Loop BB6_70 Depth 4
                                        ;           Child Loop BB6_72 Depth 5
	v_ashrrev_i32_e32 v17, 31, v16
	s_waitcnt lgkmcnt(0)
	v_lshlrev_b64 v[18:19], 2, v[16:17]
	v_mov_b32_e32 v17, s15
	v_add_co_u32_e32 v18, vcc, s14, v18
	v_addc_co_u32_e32 v19, vcc, v17, v19, vcc
	global_load_dword v17, v[18:19], off
	v_mov_b32_e32 v19, s31
	s_and_saveexec_b64 s[50:51], s[4:5]
	s_cbranch_execz .LBB6_57
; %bb.56:                               ;   in Loop: Header=BB6_55 Depth=2
	global_load_dword v18, v[14:15], off
	s_waitcnt vmcnt(0)
	v_subrev_u32_e32 v19, s28, v18
.LBB6_57:                               ;   in Loop: Header=BB6_55 Depth=2
	s_or_b64 exec, exec, s[50:51]
	s_waitcnt vmcnt(0)
	v_subrev_u32_e32 v17, s28, v17
	v_cmp_lt_i32_e32 vcc, v19, v17
	v_mov_b32_e32 v20, v12
	s_and_saveexec_b64 s[50:51], vcc
	s_cbranch_execz .LBB6_63
; %bb.58:                               ;   in Loop: Header=BB6_55 Depth=2
	s_mov_b64 s[52:53], 0
	v_mov_b32_e32 v18, v12
	s_branch .LBB6_60
.LBB6_59:                               ;   in Loop: Header=BB6_60 Depth=3
	s_or_b64 exec, exec, s[54:55]
	v_cmp_ge_i32_e32 vcc, v19, v17
	s_or_b64 s[52:53], vcc, s[52:53]
	v_mov_b32_e32 v18, v20
	s_andn2_b64 exec, exec, s[52:53]
	s_cbranch_execz .LBB6_62
.LBB6_60:                               ;   Parent Loop BB6_14 Depth=1
                                        ;     Parent Loop BB6_55 Depth=2
                                        ; =>    This Inner Loop Header: Depth=3
	v_add_u32_e32 v20, 64, v18
	v_cmp_lt_i32_e32 vcc, v20, v1
	v_mov_b32_e32 v19, s31
	s_and_saveexec_b64 s[54:55], vcc
	s_cbranch_execz .LBB6_59
; %bb.61:                               ;   in Loop: Header=BB6_60 Depth=3
	v_ashrrev_i32_e32 v19, 31, v18
	v_lshlrev_b64 v[18:19], 2, v[18:19]
	v_mov_b32_e32 v21, s62
	v_add_co_u32_e32 v18, vcc, s61, v18
	v_addc_co_u32_e32 v19, vcc, v21, v19, vcc
	global_load_dword v18, v[18:19], off
	s_waitcnt vmcnt(0)
	v_subrev_u32_e32 v19, s28, v18
	s_branch .LBB6_59
.LBB6_62:                               ;   in Loop: Header=BB6_55 Depth=2
	s_or_b64 exec, exec, s[52:53]
.LBB6_63:                               ;   in Loop: Header=BB6_55 Depth=2
	s_or_b64 exec, exec, s[50:51]
	v_cmp_eq_u32_e32 vcc, v19, v17
	s_cbranch_vccz .LBB6_54
; %bb.64:                               ;   in Loop: Header=BB6_55 Depth=2
	s_ff1_i32_b64 s19, vcc
	v_and_or_b32 v17, v26, 64, s19
	v_lshlrev_b32_e32 v17, 2, v17
	ds_bpermute_b32 v18, v17, v20
	s_and_saveexec_b64 s[50:51], s[0:1]
	s_cbranch_execz .LBB6_53
; %bb.65:                               ;   in Loop: Header=BB6_55 Depth=2
	v_mul_lo_u32 v17, v16, s29
	s_waitcnt lgkmcnt(0)
	v_mul_lo_u32 v19, v18, s29
	s_mov_b64 s[52:53], 0
	v_mov_b32_e32 v27, v7
	v_mov_b32_e32 v18, v0
	s_branch .LBB6_67
.LBB6_66:                               ;   in Loop: Header=BB6_67 Depth=3
	v_add_u32_e32 v18, 64, v18
	v_cmp_le_i32_e32 vcc, s29, v18
	s_or_b64 s[52:53], vcc, s[52:53]
	v_add_u32_e32 v27, s64, v27
	s_andn2_b64 exec, exec, s[52:53]
	s_cbranch_execz .LBB6_53
.LBB6_67:                               ;   Parent Loop BB6_14 Depth=1
                                        ;     Parent Loop BB6_55 Depth=2
                                        ; =>    This Loop Header: Depth=3
                                        ;         Child Loop BB6_70 Depth 4
                                        ;           Child Loop BB6_72 Depth 5
	v_add_u32_e32 v20, v18, v19
	v_mul_lo_u32 v28, v20, s29
	s_mov_b32 s19, 0
	v_mov_b32_e32 v29, v23
	s_branch .LBB6_70
.LBB6_68:                               ;   in Loop: Header=BB6_70 Depth=4
	v_add_u32_e32 v20, s19, v28
.LBB6_69:                               ;   in Loop: Header=BB6_70 Depth=4
	v_ashrrev_i32_e32 v21, 31, v20
	v_lshlrev_b64 v[20:21], 2, v[20:21]
	v_mov_b32_e32 v31, s17
	v_add_co_u32_e32 v20, vcc, s16, v20
	v_addc_co_u32_e32 v21, vcc, v31, v21, vcc
	global_load_dword v31, v[20:21], off
	s_add_i32 s19, s19, 1
	s_cmp_eq_u32 s19, s29
	v_add_u32_e32 v29, 1, v29
	s_waitcnt vmcnt(0)
	v_sub_f32_e32 v30, v31, v30
	global_store_dword v[20:21], v30, off
	s_cbranch_scc1 .LBB6_66
.LBB6_70:                               ;   Parent Loop BB6_14 Depth=1
                                        ;     Parent Loop BB6_55 Depth=2
                                        ;       Parent Loop BB6_67 Depth=3
                                        ; =>      This Loop Header: Depth=4
                                        ;           Child Loop BB6_72 Depth 5
	v_add_u32_e32 v20, s19, v17
	v_mul_lo_u32 v31, v20, s29
	v_mov_b32_e32 v30, 0
	v_mov_b32_e32 v32, v29
	s_mov_b32 s56, 0
	s_branch .LBB6_72
.LBB6_71:                               ;   in Loop: Header=BB6_72 Depth=5
	v_ashrrev_i32_e32 v21, 31, v20
	v_lshlrev_b64 v[20:21], 2, v[20:21]
	v_mov_b32_e32 v34, s17
	v_add_co_u32_e32 v20, vcc, s16, v20
	v_addc_co_u32_e32 v21, vcc, v34, v21, vcc
	global_load_dword v20, v[20:21], off
	s_add_i32 s56, s56, 1
	s_cmp_eq_u32 s29, s56
	v_add_u32_e32 v32, s29, v32
	s_waitcnt vmcnt(0)
	v_fmac_f32_e32 v30, v33, v20
	s_cbranch_scc1 .LBB6_78
.LBB6_72:                               ;   Parent Loop BB6_14 Depth=1
                                        ;     Parent Loop BB6_55 Depth=2
                                        ;       Parent Loop BB6_67 Depth=3
                                        ;         Parent Loop BB6_70 Depth=4
                                        ; =>        This Inner Loop Header: Depth=5
	s_and_b64 vcc, exec, s[38:39]
	s_cbranch_vccz .LBB6_77
; %bb.73:                               ;   in Loop: Header=BB6_72 Depth=5
	v_add_u32_e32 v20, s56, v11
	v_mad_u64_u32 v[20:21], s[54:55], v20, s29, v[18:19]
	s_cbranch_execnz .LBB6_75
.LBB6_74:                               ;   in Loop: Header=BB6_72 Depth=5
	v_add_u32_e32 v20, s56, v27
.LBB6_75:                               ;   in Loop: Header=BB6_72 Depth=5
	v_ashrrev_i32_e32 v21, 31, v20
	v_lshlrev_b64 v[20:21], 2, v[20:21]
	v_mov_b32_e32 v33, s17
	v_add_co_u32_e32 v20, vcc, s16, v20
	v_addc_co_u32_e32 v21, vcc, v33, v21, vcc
	global_load_dword v33, v[20:21], off
	s_andn2_b64 vcc, exec, s[38:39]
	v_mov_b32_e32 v20, v32
	s_cbranch_vccnz .LBB6_71
; %bb.76:                               ;   in Loop: Header=BB6_72 Depth=5
	v_add_u32_e32 v20, s56, v31
	s_branch .LBB6_71
.LBB6_77:                               ;   in Loop: Header=BB6_72 Depth=5
                                        ; implicit-def: $vgpr20
	s_branch .LBB6_74
.LBB6_78:                               ;   in Loop: Header=BB6_70 Depth=4
	s_and_b64 vcc, exec, s[38:39]
	s_cbranch_vccz .LBB6_80
; %bb.79:                               ;   in Loop: Header=BB6_70 Depth=4
	v_add_u32_e32 v20, s19, v19
	v_mad_u64_u32 v[20:21], s[54:55], v20, s29, v[18:19]
	s_cbranch_execnz .LBB6_69
	s_branch .LBB6_68
.LBB6_80:                               ;   in Loop: Header=BB6_70 Depth=4
                                        ; implicit-def: $vgpr20
	s_branch .LBB6_68
.LBB6_81:
	s_or_b64 exec, exec, s[12:13]
	s_and_b64 s[6:7], s[40:41], exec
.LBB6_82:
	s_or_b64 exec, exec, s[36:37]
	v_ashrrev_i32_e32 v7, 31, v6
	v_lshlrev_b64 v[10:11], 2, v[6:7]
	v_mov_b32_e32 v3, s15
	v_add_co_u32_e32 v10, vcc, s14, v10
	v_addc_co_u32_e32 v11, vcc, v3, v11, vcc
	global_load_dword v3, v[10:11], off
	s_waitcnt lgkmcnt(0)
	s_cmp_gt_i32 s29, 0
	s_cselect_b64 s[8:9], -1, 0
	s_waitcnt vmcnt(0)
	v_subrev_u32_e32 v3, s28, v3
	v_cmp_eq_u32_e32 vcc, v3, v2
	s_and_b64 s[0:1], s[8:9], vcc
	s_and_saveexec_b64 s[10:11], s[0:1]
	s_cbranch_execz .LBB6_122
; %bb.83:
	s_cmp_eq_u64 s[20:21], 8
	v_cvt_f64_f32_e32 v[10:11], v25
	s_cselect_b64 vcc, -1, 0
	s_cmp_lg_u32 s30, 0
	v_mul_lo_u32 v3, v6, s29
	v_cndmask_b32_e64 v12, 0, 1, s[34:35]
	v_cndmask_b32_e32 v9, v11, v9, vcc
	v_cndmask_b32_e32 v8, v10, v8, vcc
	s_cselect_b64 s[12:13], -1, 0
	v_cmp_eq_u32_e64 s[0:1], 0, v0
	v_add3_u32 v7, v3, v0, 1
	s_lshl_b32 s31, s29, 6
	s_mov_b64 s[14:15], 0
	v_mov_b32_e32 v10, 0
	v_mov_b32_e32 v11, s17
	v_cmp_ne_u32_e64 s[2:3], 1, v12
	s_mov_b64 s[20:21], s[6:7]
                                        ; implicit-def: $sgpr18_sgpr19
	s_branch .LBB6_85
.LBB6_84:                               ;   in Loop: Header=BB6_85 Depth=1
	s_or_b64 exec, exec, s[4:5]
	v_cmp_eq_u32_e32 vcc, s29, v13
	s_or_b64 s[14:15], vcc, s[14:15]
	s_andn2_b64 s[4:5], s[18:19], exec
	s_and_b64 s[18:19], s[20:21], exec
	s_or_b64 s[18:19], s[4:5], s[18:19]
	v_mov_b32_e32 v10, v13
	s_andn2_b64 exec, exec, s[14:15]
	s_cbranch_execz .LBB6_121
.LBB6_85:                               ; =>This Loop Header: Depth=1
                                        ;     Child Loop BB6_95 Depth 2
                                        ;       Child Loop BB6_105 Depth 3
	v_add_u32_e32 v12, v10, v3
	v_mul_lo_u32 v18, v12, s29
	v_add_u32_e32 v12, v18, v10
	v_ashrrev_i32_e32 v13, 31, v12
	v_lshlrev_b64 v[12:13], 2, v[12:13]
	v_add_co_u32_e32 v12, vcc, s16, v12
	v_addc_co_u32_e32 v13, vcc, v11, v13, vcc
	global_load_dword v19, v[12:13], off
	s_and_b64 vcc, exec, s[2:3]
	s_cbranch_vccnz .LBB6_90
; %bb.86:                               ;   in Loop: Header=BB6_85 Depth=1
	s_waitcnt vmcnt(0)
	v_cmp_gt_f32_e32 vcc, 0, v19
	v_cndmask_b32_e64 v14, v19, -v19, vcc
	v_cvt_f64_f32_e32 v[14:15], v14
	v_cmp_ge_f64_e32 vcc, v[8:9], v[14:15]
	v_cndmask_b32_e32 v14, v19, v24, vcc
	s_and_saveexec_b64 s[4:5], s[0:1]
	s_cbranch_execz .LBB6_88
; %bb.87:                               ;   in Loop: Header=BB6_85 Depth=1
	global_store_dword v[12:13], v14, off
.LBB6_88:                               ;   in Loop: Header=BB6_85 Depth=1
	s_or_b64 exec, exec, s[4:5]
	s_mov_b64 s[4:5], -1
	s_mov_b64 s[34:35], 0
	s_cbranch_execz .LBB6_91
; %bb.89:                               ;   in Loop: Header=BB6_85 Depth=1
	s_waitcnt vmcnt(0)
	v_mov_b32_e32 v19, v14
                                        ; implicit-def: $sgpr38_sgpr39
                                        ; implicit-def: $vgpr13
	s_and_saveexec_b64 s[36:37], s[4:5]
	s_xor_b64 s[36:37], exec, s[36:37]
	s_cbranch_execz .LBB6_119
	s_branch .LBB6_92
.LBB6_90:                               ;   in Loop: Header=BB6_85 Depth=1
	s_mov_b64 s[4:5], 0
                                        ; implicit-def: $vgpr14
	s_mov_b64 s[34:35], 0
.LBB6_91:                               ;   in Loop: Header=BB6_85 Depth=1
	s_waitcnt vmcnt(0)
	v_cmp_neq_f32_e32 vcc, 0, v19
	s_andn2_b64 s[4:5], s[4:5], exec
	s_and_b64 s[36:37], vcc, exec
	s_mov_b64 s[34:35], -1
	s_or_b64 s[4:5], s[4:5], s[36:37]
                                        ; implicit-def: $sgpr38_sgpr39
                                        ; implicit-def: $vgpr13
	s_and_saveexec_b64 s[36:37], s[4:5]
	s_xor_b64 s[36:37], exec, s[36:37]
	s_cbranch_execz .LBB6_119
.LBB6_92:                               ;   in Loop: Header=BB6_85 Depth=1
	v_add_u32_e32 v13, 1, v10
	v_add_u32_e32 v12, v13, v0
	v_cmp_gt_i32_e32 vcc, s29, v12
	s_and_saveexec_b64 s[38:39], vcc
	s_cbranch_execz .LBB6_118
; %bb.93:                               ;   in Loop: Header=BB6_85 Depth=1
	v_add_u32_e32 v14, v7, v10
	v_cmp_gt_i32_e64 s[4:5], s29, v13
	v_mul_lo_u32 v20, s29, v14
	s_mov_b64 s[40:41], 0
	s_branch .LBB6_95
.LBB6_94:                               ;   in Loop: Header=BB6_95 Depth=2
	s_or_b64 exec, exec, s[42:43]
	v_add_u32_e32 v12, 64, v12
	v_cmp_le_i32_e32 vcc, s29, v12
	s_or_b64 s[40:41], vcc, s[40:41]
	v_add_u32_e32 v20, s31, v20
	s_andn2_b64 exec, exec, s[40:41]
	s_cbranch_execz .LBB6_118
.LBB6_95:                               ;   Parent Loop BB6_85 Depth=1
                                        ; =>  This Loop Header: Depth=2
                                        ;       Child Loop BB6_105 Depth 3
	s_and_b64 vcc, exec, s[12:13]
	v_add_u32_e32 v14, v12, v18
	s_cbranch_vccz .LBB6_116
; %bb.96:                               ;   in Loop: Header=BB6_95 Depth=2
	v_add_u32_e32 v16, v12, v18
	s_cbranch_execnz .LBB6_98
.LBB6_97:                               ;   in Loop: Header=BB6_95 Depth=2
	v_add_u32_e32 v15, v12, v3
	v_mad_u64_u32 v[16:17], s[42:43], v15, s29, v[10:11]
.LBB6_98:                               ;   in Loop: Header=BB6_95 Depth=2
	v_ashrrev_i32_e32 v17, 31, v16
	v_lshlrev_b64 v[16:17], 2, v[16:17]
	v_add_co_u32_e32 v16, vcc, s16, v16
	v_addc_co_u32_e32 v17, vcc, v11, v17, vcc
	global_load_dword v16, v[16:17], off
	s_and_b64 vcc, exec, s[12:13]
	s_cbranch_vccz .LBB6_117
; %bb.99:                               ;   in Loop: Header=BB6_95 Depth=2
	s_cbranch_execnz .LBB6_101
.LBB6_100:                              ;   in Loop: Header=BB6_95 Depth=2
	v_add_u32_e32 v14, v12, v3
	v_mad_u64_u32 v[14:15], s[42:43], v14, s29, v[10:11]
.LBB6_101:                              ;   in Loop: Header=BB6_95 Depth=2
	s_waitcnt vmcnt(0)
	v_div_scale_f32 v15, s[42:43], v19, v19, v16
	v_rcp_f32_e32 v17, v15
	v_div_scale_f32 v21, vcc, v16, v19, v16
	v_fma_f32 v22, -v15, v17, 1.0
	v_fmac_f32_e32 v17, v22, v17
	v_mul_f32_e32 v22, v21, v17
	v_fma_f32 v23, -v15, v22, v21
	v_fmac_f32_e32 v22, v23, v17
	v_fma_f32 v15, -v15, v22, v21
	v_div_fmas_f32 v15, v15, v17, v22
	v_div_fixup_f32 v16, v15, v19, v16
	v_ashrrev_i32_e32 v15, 31, v14
	v_lshlrev_b64 v[14:15], 2, v[14:15]
	v_add_co_u32_e32 v14, vcc, s16, v14
	v_addc_co_u32_e32 v15, vcc, v11, v15, vcc
	global_store_dword v[14:15], v16, off
	s_and_saveexec_b64 s[42:43], s[4:5]
	s_cbranch_execz .LBB6_94
; %bb.102:                              ;   in Loop: Header=BB6_95 Depth=2
	s_mov_b64 s[44:45], 0
	v_mov_b32_e32 v17, v13
	s_branch .LBB6_105
.LBB6_103:                              ;   in Loop: Header=BB6_105 Depth=3
	v_add_u32_e32 v14, v20, v17
.LBB6_104:                              ;   in Loop: Header=BB6_105 Depth=3
	v_ashrrev_i32_e32 v15, 31, v14
	v_lshlrev_b64 v[14:15], 2, v[14:15]
	s_waitcnt vmcnt(0)
	v_fma_f32 v21, -v16, v22, v23
	v_mov_b32_e32 v22, s17
	v_add_co_u32_e32 v14, vcc, s16, v14
	v_addc_co_u32_e32 v15, vcc, v22, v15, vcc
	v_add_u32_e32 v17, 1, v17
	v_cmp_le_i32_e32 vcc, s29, v17
	s_or_b64 s[44:45], vcc, s[44:45]
	global_store_dword v[14:15], v21, off
	s_andn2_b64 exec, exec, s[44:45]
	s_cbranch_execz .LBB6_94
.LBB6_105:                              ;   Parent Loop BB6_85 Depth=1
                                        ;     Parent Loop BB6_95 Depth=2
                                        ; =>    This Inner Loop Header: Depth=3
	s_and_b64 vcc, exec, s[12:13]
	v_add_u32_e32 v21, v17, v3
	s_cbranch_vccz .LBB6_113
; %bb.106:                              ;   in Loop: Header=BB6_105 Depth=3
	v_mad_u64_u32 v[14:15], s[46:47], v21, s29, v[10:11]
	s_cbranch_execnz .LBB6_108
.LBB6_107:                              ;   in Loop: Header=BB6_105 Depth=3
	v_add_u32_e32 v14, v18, v17
.LBB6_108:                              ;   in Loop: Header=BB6_105 Depth=3
	v_ashrrev_i32_e32 v15, 31, v14
	v_lshlrev_b64 v[14:15], 2, v[14:15]
	v_mov_b32_e32 v22, s17
	v_add_co_u32_e32 v14, vcc, s16, v14
	v_addc_co_u32_e32 v15, vcc, v22, v15, vcc
	global_load_dword v22, v[14:15], off
	s_and_b64 vcc, exec, s[12:13]
	s_cbranch_vccz .LBB6_114
; %bb.109:                              ;   in Loop: Header=BB6_105 Depth=3
	v_mad_u64_u32 v[14:15], s[46:47], v21, s29, v[12:13]
	s_cbranch_execnz .LBB6_111
.LBB6_110:                              ;   in Loop: Header=BB6_105 Depth=3
	v_add_u32_e32 v14, v20, v17
.LBB6_111:                              ;   in Loop: Header=BB6_105 Depth=3
	v_ashrrev_i32_e32 v15, 31, v14
	v_lshlrev_b64 v[14:15], 2, v[14:15]
	v_mov_b32_e32 v23, s17
	v_add_co_u32_e32 v14, vcc, s16, v14
	v_addc_co_u32_e32 v15, vcc, v23, v15, vcc
	global_load_dword v23, v[14:15], off
	s_and_b64 vcc, exec, s[12:13]
	s_cbranch_vccz .LBB6_115
; %bb.112:                              ;   in Loop: Header=BB6_105 Depth=3
	v_mad_u64_u32 v[14:15], s[46:47], v21, s29, v[12:13]
	s_cbranch_execnz .LBB6_104
	s_branch .LBB6_103
.LBB6_113:                              ;   in Loop: Header=BB6_105 Depth=3
                                        ; implicit-def: $vgpr14
	s_branch .LBB6_107
.LBB6_114:                              ;   in Loop: Header=BB6_105 Depth=3
                                        ; implicit-def: $vgpr14
	s_branch .LBB6_110
.LBB6_115:                              ;   in Loop: Header=BB6_105 Depth=3
                                        ; implicit-def: $vgpr14
	s_branch .LBB6_103
.LBB6_116:                              ;   in Loop: Header=BB6_95 Depth=2
                                        ; implicit-def: $vgpr16
	s_branch .LBB6_97
.LBB6_117:                              ;   in Loop: Header=BB6_95 Depth=2
                                        ; implicit-def: $vgpr14
	s_branch .LBB6_100
.LBB6_118:                              ;   in Loop: Header=BB6_85 Depth=1
	s_or_b64 exec, exec, s[38:39]
	s_and_b64 s[38:39], s[20:21], exec
	s_andn2_b64 s[34:35], s[34:35], exec
.LBB6_119:                              ;   in Loop: Header=BB6_85 Depth=1
	s_or_b64 exec, exec, s[36:37]
	s_andn2_b64 s[4:5], s[20:21], exec
	s_and_b64 s[20:21], s[38:39], exec
	s_or_b64 s[20:21], s[4:5], s[20:21]
	s_and_saveexec_b64 s[4:5], s[34:35]
	s_cbranch_execz .LBB6_84
; %bb.120:                              ;   in Loop: Header=BB6_85 Depth=1
	v_add_u32_e32 v13, 1, v10
	s_or_b64 s[20:21], s[20:21], exec
	s_branch .LBB6_84
.LBB6_121:
	s_or_b64 exec, exec, s[14:15]
	s_andn2_b64 s[0:1], s[6:7], exec
	s_and_b64 s[2:3], s[18:19], exec
	s_or_b64 s[6:7], s[0:1], s[2:3]
.LBB6_122:
	s_or_b64 exec, exec, s[10:11]
	v_add_u32_e32 v3, 1, v6
	v_cmp_lt_i32_e32 vcc, v3, v1
	s_and_saveexec_b64 s[10:11], vcc
	s_cbranch_execz .LBB6_146
; %bb.123:
	v_mul_lo_u32 v10, v6, s29
	v_mul_lo_u32 v6, s29, v10
	s_mul_i32 s31, s29, s29
	v_add_u32_e32 v11, s29, v6
	v_mul_lo_u32 v6, s31, v3
	s_cmp_lg_u32 s30, 0
	v_add3_u32 v12, v6, s29, v0
	v_cndmask_b32_e64 v6, 0, 1, s[8:9]
	v_cmp_gt_i32_e64 s[0:1], s29, v0
	s_cselect_b64 s[12:13], -1, 0
	s_add_i32 s30, s29, 1
	s_mov_b64 s[14:15], 0
	v_cmp_ne_u32_e64 s[2:3], 1, v6
	s_branch .LBB6_125
.LBB6_124:                              ;   in Loop: Header=BB6_125 Depth=1
	v_add_u32_e32 v3, 1, v3
	v_cmp_ge_i32_e32 vcc, v3, v1
	s_or_b64 s[14:15], vcc, s[14:15]
	v_add_u32_e32 v12, s31, v12
	s_andn2_b64 exec, exec, s[14:15]
	s_cbranch_execz .LBB6_146
.LBB6_125:                              ; =>This Loop Header: Depth=1
                                        ;     Child Loop BB6_128 Depth 2
                                        ;       Child Loop BB6_131 Depth 3
                                        ;         Child Loop BB6_135 Depth 4
	s_and_b64 vcc, exec, s[2:3]
	s_cbranch_vccnz .LBB6_124
; %bb.126:                              ;   in Loop: Header=BB6_125 Depth=1
	v_mul_lo_u32 v13, v3, s29
	s_mov_b32 s33, 0
	v_mov_b32_e32 v14, v12
	v_mov_b32_e32 v15, v11
	s_branch .LBB6_128
.LBB6_127:                              ;   in Loop: Header=BB6_128 Depth=2
	s_or_b64 exec, exec, s[8:9]
	v_add_u32_e32 v15, s30, v15
	v_add_u32_e32 v14, s29, v14
	s_cmp_eq_u32 s34, s29
	s_mov_b32 s33, s34
	s_cbranch_scc1 .LBB6_124
.LBB6_128:                              ;   Parent Loop BB6_125 Depth=1
                                        ; =>  This Loop Header: Depth=2
                                        ;       Child Loop BB6_131 Depth 3
                                        ;         Child Loop BB6_135 Depth 4
	s_add_i32 s34, s33, 1
	s_and_saveexec_b64 s[8:9], s[0:1]
	s_cbranch_execz .LBB6_127
; %bb.129:                              ;   in Loop: Header=BB6_128 Depth=2
	s_cmp_lt_i32 s34, s29
	v_add_u32_e32 v6, s33, v10
	v_mul_lo_u32 v16, v6, s29
	v_add_u32_e32 v6, s33, v13
	s_cselect_b64 s[4:5], -1, 0
	v_mul_lo_u32 v17, v6, s29
	v_cndmask_b32_e64 v6, 0, 1, s[4:5]
	s_mov_b64 s[18:19], 0
	v_cmp_ne_u32_e64 s[4:5], 1, v6
	v_mov_b32_e32 v18, v14
	v_mov_b32_e32 v19, v0
	s_branch .LBB6_131
.LBB6_130:                              ;   in Loop: Header=BB6_131 Depth=3
	v_add_u32_e32 v19, 64, v19
	v_cmp_le_i32_e32 vcc, s29, v19
	s_or_b64 s[18:19], vcc, s[18:19]
	v_add_u32_e32 v18, 64, v18
	s_andn2_b64 exec, exec, s[18:19]
	s_cbranch_execz .LBB6_127
.LBB6_131:                              ;   Parent Loop BB6_125 Depth=1
                                        ;     Parent Loop BB6_128 Depth=2
                                        ; =>    This Loop Header: Depth=3
                                        ;         Child Loop BB6_135 Depth 4
	s_and_b64 vcc, exec, s[4:5]
	s_cbranch_vccnz .LBB6_130
; %bb.132:                              ;   in Loop: Header=BB6_131 Depth=3
	v_add_u32_e32 v6, v19, v13
	v_mul_lo_u32 v20, v6, s29
	v_add_u32_e32 v21, s33, v20
	v_add_u32_e32 v22, v19, v17
	s_mov_b32 s35, 0
	s_mov_b32 s36, s34
	s_branch .LBB6_135
.LBB6_133:                              ;   in Loop: Header=BB6_135 Depth=4
	v_mov_b32_e32 v6, v24
.LBB6_134:                              ;   in Loop: Header=BB6_135 Depth=4
	s_waitcnt vmcnt(0)
	v_fma_f32 v8, -v7, v23, v8
	v_ashrrev_i32_e32 v7, 31, v6
	v_lshlrev_b64 v[6:7], 2, v[6:7]
	v_mov_b32_e32 v9, s17
	v_add_co_u32_e32 v6, vcc, s16, v6
	s_add_i32 s36, s36, 1
	s_add_i32 s35, s35, s29
	v_addc_co_u32_e32 v7, vcc, v9, v7, vcc
	s_cmp_ge_i32 s36, s29
	global_store_dword v[6:7], v8, off
	s_cbranch_scc1 .LBB6_130
.LBB6_135:                              ;   Parent Loop BB6_125 Depth=1
                                        ;     Parent Loop BB6_128 Depth=2
                                        ;       Parent Loop BB6_131 Depth=3
                                        ; =>      This Inner Loop Header: Depth=4
	s_and_b64 vcc, exec, s[12:13]
	s_cbranch_vccz .LBB6_143
; %bb.136:                              ;   in Loop: Header=BB6_135 Depth=4
	v_add_u32_e32 v6, s36, v16
	v_mov_b32_e32 v8, v21
	s_cbranch_execnz .LBB6_138
.LBB6_137:                              ;   in Loop: Header=BB6_135 Depth=4
	v_add_u32_e32 v6, s35, v15
	v_mov_b32_e32 v8, v22
.LBB6_138:                              ;   in Loop: Header=BB6_135 Depth=4
	v_ashrrev_i32_e32 v7, 31, v6
	v_lshlrev_b64 v[6:7], 2, v[6:7]
	v_mov_b32_e32 v9, s17
	v_add_co_u32_e32 v24, vcc, s16, v6
	v_addc_co_u32_e32 v25, vcc, v9, v7, vcc
	v_ashrrev_i32_e32 v9, 31, v8
	v_lshlrev_b64 v[6:7], 2, v[8:9]
	v_mov_b32_e32 v9, s17
	v_add_co_u32_e32 v8, vcc, s16, v6
	v_addc_co_u32_e32 v9, vcc, v9, v7, vcc
	global_load_dword v7, v[24:25], off
	global_load_dword v23, v[8:9], off
	s_and_b64 vcc, exec, s[12:13]
	v_add_u32_e32 v6, s36, v20
	s_cbranch_vccz .LBB6_144
; %bb.139:                              ;   in Loop: Header=BB6_135 Depth=4
	v_add_u32_e32 v8, s36, v20
	v_add_u32_e32 v24, s35, v18
	s_cbranch_execnz .LBB6_141
.LBB6_140:                              ;   in Loop: Header=BB6_135 Depth=4
	v_add_u32_e32 v8, s35, v18
.LBB6_141:                              ;   in Loop: Header=BB6_135 Depth=4
	v_ashrrev_i32_e32 v9, 31, v8
	v_lshlrev_b64 v[8:9], 2, v[8:9]
	v_mov_b32_e32 v25, s17
	v_add_co_u32_e32 v8, vcc, s16, v8
	v_addc_co_u32_e32 v9, vcc, v25, v9, vcc
	global_load_dword v8, v[8:9], off
	s_and_b64 vcc, exec, s[12:13]
	s_cbranch_vccz .LBB6_145
; %bb.142:                              ;   in Loop: Header=BB6_135 Depth=4
	s_cbranch_execnz .LBB6_134
	s_branch .LBB6_133
.LBB6_143:                              ;   in Loop: Header=BB6_135 Depth=4
                                        ; implicit-def: $vgpr6
	v_mov_b32_e32 v8, v21
	s_branch .LBB6_137
.LBB6_144:                              ;   in Loop: Header=BB6_135 Depth=4
                                        ; implicit-def: $vgpr8
	v_add_u32_e32 v24, s35, v18
	s_branch .LBB6_140
.LBB6_145:                              ;   in Loop: Header=BB6_135 Depth=4
                                        ; implicit-def: $vgpr6
	s_branch .LBB6_133
.LBB6_146:
	s_or_b64 exec, exec, s[10:11]
	s_orn2_b64 s[0:1], s[6:7], exec
.LBB6_147:
	s_or_b64 exec, exec, s[26:27]
	v_cmp_eq_u32_e32 vcc, 0, v0
	s_and_b64 exec, exec, vcc
	s_cbranch_execz .LBB6_153
; %bb.148:
	v_mov_b32_e32 v1, s25
	v_add_co_u32_e32 v0, vcc, s24, v4
	v_addc_co_u32_e32 v1, vcc, v1, v5, vcc
	v_mov_b32_e32 v3, 1
	s_waitcnt vmcnt(0)
	global_store_dword v[0:1], v3, off
	s_and_b64 exec, exec, s[0:1]
	s_cbranch_execz .LBB6_153
; %bb.149:
	s_mov_b64 s[0:1], exec
	v_add_u32_e32 v0, s28, v2
	s_brev_b32 s2, -2
.LBB6_150:                              ; =>This Inner Loop Header: Depth=1
	s_ff1_i32_b64 s3, s[0:1]
	v_readlane_b32 s6, v0, s3
	s_lshl_b64 s[4:5], 1, s3
	s_min_i32 s2, s2, s6
	s_andn2_b64 s[0:1], s[0:1], s[4:5]
	s_cmp_lg_u64 s[0:1], 0
	s_cbranch_scc1 .LBB6_150
; %bb.151:
	v_mbcnt_lo_u32_b32 v0, exec_lo, 0
	v_mbcnt_hi_u32_b32 v0, exec_hi, v0
	v_cmp_eq_u32_e32 vcc, 0, v0
	s_and_saveexec_b64 s[0:1], vcc
	s_xor_b64 s[0:1], exec, s[0:1]
	s_cbranch_execz .LBB6_153
; %bb.152:
	v_mov_b32_e32 v0, 0
	v_mov_b32_e32 v1, s2
	global_atomic_smin v0, v1, s[22:23]
.LBB6_153:
	s_endpgm
	.section	.rodata,"a",@progbits
	.p2align	6, 0x0
	.amdhsa_kernel _ZN9rocsparseL15bsrilu0_generalILj128ELj64ELb0EfEEv20rocsparse_direction_iPKiS3_PT2_S3_iPiS3_S6_21rocsparse_index_base_imNS_24const_host_device_scalarIfEENS8_IdEENS8_IS4_EEb
		.amdhsa_group_segment_fixed_size 0
		.amdhsa_private_segment_fixed_size 0
		.amdhsa_kernarg_size 116
		.amdhsa_user_sgpr_count 6
		.amdhsa_user_sgpr_private_segment_buffer 1
		.amdhsa_user_sgpr_dispatch_ptr 0
		.amdhsa_user_sgpr_queue_ptr 0
		.amdhsa_user_sgpr_kernarg_segment_ptr 1
		.amdhsa_user_sgpr_dispatch_id 0
		.amdhsa_user_sgpr_flat_scratch_init 0
		.amdhsa_user_sgpr_kernarg_preload_length 0
		.amdhsa_user_sgpr_kernarg_preload_offset 0
		.amdhsa_user_sgpr_private_segment_size 0
		.amdhsa_uses_dynamic_stack 0
		.amdhsa_system_sgpr_private_segment_wavefront_offset 0
		.amdhsa_system_sgpr_workgroup_id_x 1
		.amdhsa_system_sgpr_workgroup_id_y 0
		.amdhsa_system_sgpr_workgroup_id_z 0
		.amdhsa_system_sgpr_workgroup_info 0
		.amdhsa_system_vgpr_workitem_id 0
		.amdhsa_next_free_vgpr 37
		.amdhsa_next_free_sgpr 65
		.amdhsa_accum_offset 40
		.amdhsa_reserve_vcc 1
		.amdhsa_reserve_flat_scratch 0
		.amdhsa_float_round_mode_32 0
		.amdhsa_float_round_mode_16_64 0
		.amdhsa_float_denorm_mode_32 3
		.amdhsa_float_denorm_mode_16_64 3
		.amdhsa_dx10_clamp 1
		.amdhsa_ieee_mode 1
		.amdhsa_fp16_overflow 0
		.amdhsa_tg_split 0
		.amdhsa_exception_fp_ieee_invalid_op 0
		.amdhsa_exception_fp_denorm_src 0
		.amdhsa_exception_fp_ieee_div_zero 0
		.amdhsa_exception_fp_ieee_overflow 0
		.amdhsa_exception_fp_ieee_underflow 0
		.amdhsa_exception_fp_ieee_inexact 0
		.amdhsa_exception_int_div_zero 0
	.end_amdhsa_kernel
	.section	.text._ZN9rocsparseL15bsrilu0_generalILj128ELj64ELb0EfEEv20rocsparse_direction_iPKiS3_PT2_S3_iPiS3_S6_21rocsparse_index_base_imNS_24const_host_device_scalarIfEENS8_IdEENS8_IS4_EEb,"axG",@progbits,_ZN9rocsparseL15bsrilu0_generalILj128ELj64ELb0EfEEv20rocsparse_direction_iPKiS3_PT2_S3_iPiS3_S6_21rocsparse_index_base_imNS_24const_host_device_scalarIfEENS8_IdEENS8_IS4_EEb,comdat
.Lfunc_end6:
	.size	_ZN9rocsparseL15bsrilu0_generalILj128ELj64ELb0EfEEv20rocsparse_direction_iPKiS3_PT2_S3_iPiS3_S6_21rocsparse_index_base_imNS_24const_host_device_scalarIfEENS8_IdEENS8_IS4_EEb, .Lfunc_end6-_ZN9rocsparseL15bsrilu0_generalILj128ELj64ELb0EfEEv20rocsparse_direction_iPKiS3_PT2_S3_iPiS3_S6_21rocsparse_index_base_imNS_24const_host_device_scalarIfEENS8_IdEENS8_IS4_EEb
                                        ; -- End function
	.section	.AMDGPU.csdata,"",@progbits
; Kernel info:
; codeLenInByte = 3848
; NumSgprs: 69
; NumVgprs: 37
; NumAgprs: 0
; TotalNumVgprs: 37
; ScratchSize: 0
; MemoryBound: 0
; FloatMode: 240
; IeeeMode: 1
; LDSByteSize: 0 bytes/workgroup (compile time only)
; SGPRBlocks: 8
; VGPRBlocks: 4
; NumSGPRsForWavesPerEU: 69
; NumVGPRsForWavesPerEU: 37
; AccumOffset: 40
; Occupancy: 8
; WaveLimiterHint : 1
; COMPUTE_PGM_RSRC2:SCRATCH_EN: 0
; COMPUTE_PGM_RSRC2:USER_SGPR: 6
; COMPUTE_PGM_RSRC2:TRAP_HANDLER: 0
; COMPUTE_PGM_RSRC2:TGID_X_EN: 1
; COMPUTE_PGM_RSRC2:TGID_Y_EN: 0
; COMPUTE_PGM_RSRC2:TGID_Z_EN: 0
; COMPUTE_PGM_RSRC2:TIDIG_COMP_CNT: 0
; COMPUTE_PGM_RSRC3_GFX90A:ACCUM_OFFSET: 9
; COMPUTE_PGM_RSRC3_GFX90A:TG_SPLIT: 0
	.section	.text._ZN9rocsparseL15bsrilu0_generalILj128ELj64ELb1EdEEv20rocsparse_direction_iPKiS3_PT2_S3_iPiS3_S6_21rocsparse_index_base_imNS_24const_host_device_scalarIfEENS8_IdEENS8_IS4_EEb,"axG",@progbits,_ZN9rocsparseL15bsrilu0_generalILj128ELj64ELb1EdEEv20rocsparse_direction_iPKiS3_PT2_S3_iPiS3_S6_21rocsparse_index_base_imNS_24const_host_device_scalarIfEENS8_IdEENS8_IS4_EEb,comdat
	.globl	_ZN9rocsparseL15bsrilu0_generalILj128ELj64ELb1EdEEv20rocsparse_direction_iPKiS3_PT2_S3_iPiS3_S6_21rocsparse_index_base_imNS_24const_host_device_scalarIfEENS8_IdEENS8_IS4_EEb ; -- Begin function _ZN9rocsparseL15bsrilu0_generalILj128ELj64ELb1EdEEv20rocsparse_direction_iPKiS3_PT2_S3_iPiS3_S6_21rocsparse_index_base_imNS_24const_host_device_scalarIfEENS8_IdEENS8_IS4_EEb
	.p2align	8
	.type	_ZN9rocsparseL15bsrilu0_generalILj128ELj64ELb1EdEEv20rocsparse_direction_iPKiS3_PT2_S3_iPiS3_S6_21rocsparse_index_base_imNS_24const_host_device_scalarIfEENS8_IdEENS8_IS4_EEb,@function
_ZN9rocsparseL15bsrilu0_generalILj128ELj64ELb1EdEEv20rocsparse_direction_iPKiS3_PT2_S3_iPiS3_S6_21rocsparse_index_base_imNS_24const_host_device_scalarIfEENS8_IdEENS8_IS4_EEb: ; @_ZN9rocsparseL15bsrilu0_generalILj128ELj64ELb1EdEEv20rocsparse_direction_iPKiS3_PT2_S3_iPiS3_S6_21rocsparse_index_base_imNS_24const_host_device_scalarIfEENS8_IdEENS8_IS4_EEb
; %bb.0:
	s_load_dword s0, s[4:5], 0x70
	s_load_dwordx2 s[24:25], s[4:5], 0x48
	s_load_dwordx8 s[16:23], s[4:5], 0x50
	s_waitcnt lgkmcnt(0)
	s_bitcmp1_b32 s0, 0
	s_cselect_b64 s[0:1], -1, 0
	s_cmp_lg_u32 s25, 0
	s_cselect_b64 s[28:29], -1, 0
	s_cmp_eq_u32 s25, 0
	s_cselect_b64 s[2:3], -1, 0
	s_and_b64 s[8:9], s[2:3], exec
	s_cselect_b32 s10, 0, s20
	s_cselect_b32 s11, 0, s21
	s_or_b64 s[0:1], s[2:3], s[0:1]
	s_xor_b64 s[8:9], s[0:1], -1
	s_and_b64 vcc, exec, s[0:1]
	s_cbranch_vccnz .LBB7_2
; %bb.1:
	s_load_dword s0, s[18:19], 0x0
	s_mov_b64 s[10:11], s[20:21]
	s_waitcnt lgkmcnt(0)
	v_mov_b32_e32 v32, s0
	s_branch .LBB7_3
.LBB7_2:
	v_mov_b32_e32 v1, s18
	v_cndmask_b32_e64 v32, v1, 0, s[2:3]
.LBB7_3:
	v_cndmask_b32_e64 v1, 0, 1, s[8:9]
	v_cmp_ne_u32_e64 s[0:1], 1, v1
	s_andn2_b64 vcc, exec, s[8:9]
	v_pk_mov_b32 v[10:11], s[10:11], s[10:11] op_sel:[0,1]
	s_cbranch_vccnz .LBB7_5
; %bb.4:
	v_pk_mov_b32 v[2:3], s[20:21], s[20:21] op_sel:[0,1]
	flat_load_dwordx2 v[10:11], v[2:3]
.LBB7_5:
	s_and_b64 s[2:3], s[2:3], exec
	s_cselect_b32 s3, 0, s23
	s_cselect_b32 s2, 0, s22
	s_and_b64 vcc, exec, s[0:1]
	v_pk_mov_b32 v[6:7], s[2:3], s[2:3] op_sel:[0,1]
	s_cbranch_vccnz .LBB7_7
; %bb.6:
	v_pk_mov_b32 v[2:3], s[22:23], s[22:23] op_sel:[0,1]
	flat_load_dwordx2 v[6:7], v[2:3]
.LBB7_7:
	s_load_dwordx2 s[26:27], s[4:5], 0x0
	s_lshl_b32 s0, s6, 1
	v_lshrrev_b32_e32 v1, 6, v0
	s_and_b32 s0, s0, 0x3fffffe
	v_or_b32_e32 v1, s0, v1
	s_waitcnt lgkmcnt(0)
	v_cmp_gt_i32_e32 vcc, s27, v1
	s_and_saveexec_b64 s[0:1], vcc
	s_cbranch_execz .LBB7_154
; %bb.8:
	s_load_dwordx4 s[20:23], s[4:5], 0x30
	s_load_dwordx2 s[18:19], s[4:5], 0x40
	v_lshlrev_b32_e32 v1, 2, v1
	s_load_dwordx8 s[8:15], s[4:5], 0x8
	v_and_b32_e32 v0, 63, v0
	s_waitcnt lgkmcnt(0)
	global_load_dword v2, v1, s[22:23]
	s_mov_b64 s[0:1], -1
	v_mov_b32_e32 v1, s15
	s_waitcnt vmcnt(0)
	v_ashrrev_i32_e32 v3, 31, v2
	v_lshlrev_b64 v[4:5], 2, v[2:3]
	v_add_co_u32_e32 v8, vcc, s14, v4
	v_addc_co_u32_e32 v9, vcc, v1, v5, vcc
	global_load_dword v8, v[8:9], off
	s_waitcnt vmcnt(0)
	v_cmp_ne_u32_e32 vcc, -1, v8
	s_and_saveexec_b64 s[22:23], vcc
	s_cbranch_execz .LBB7_148
; %bb.9:
	v_mov_b32_e32 v1, s9
	v_add_co_u32_e32 v12, vcc, s8, v4
	v_addc_co_u32_e32 v13, vcc, v1, v5, vcc
	global_load_dwordx2 v[12:13], v[12:13], off
	s_load_dword s25, s[4:5], 0x28
	s_mov_b64 s[6:7], 0
	s_waitcnt vmcnt(0)
	v_subrev_u32_e32 v12, s24, v12
	v_subrev_u32_e32 v1, s24, v13
	v_cmp_lt_i32_e32 vcc, v12, v8
	s_and_saveexec_b64 s[30:31], vcc
	s_cbranch_execz .LBB7_83
; %bb.10:
	s_waitcnt lgkmcnt(0)
	s_cmp_gt_i32 s25, 0
	s_cselect_b64 s[34:35], -1, 0
	s_cmp_lg_u32 s26, 0
	s_cselect_b64 s[36:37], -1, 0
	v_add_u32_e32 v14, v12, v0
	s_add_i32 s27, s27, 1
	v_ashrrev_i32_e32 v15, 31, v14
	s_add_u32 s33, s8, 4
	v_lshlrev_b64 v[16:17], 2, v[14:15]
	s_addc_u32 s60, s9, 0
	v_mov_b32_e32 v3, s11
	v_add_co_u32_e32 v16, vcc, s10, v16
	s_add_u32 s61, s10, 0x100
	v_mad_u64_u32 v[18:19], s[6:7], s25, v12, v[0:1]
	v_mbcnt_lo_u32_b32 v13, -1, 0
	v_cmp_gt_i32_e64 s[0:1], s25, v0
	v_cmp_le_i32_e64 s[2:3], s25, v0
	v_cmp_lt_i32_e64 s[4:5], v14, v1
	v_addc_co_u32_e32 v17, vcc, v3, v17, vcc
	s_addc_u32 s62, s11, 0
	v_mul_lo_u32 v9, s25, v18
	s_mul_i32 s63, s25, s25
	s_lshl_b32 s64, s25, 6
	s_mov_b64 s[44:45], 0
	s_mov_b64 s[38:39], 0
	v_mov_b32_e32 v15, s15
	v_mbcnt_hi_u32_b32 v33, -1, v13
                                        ; implicit-def: $sgpr40_sgpr41
                                        ; implicit-def: $sgpr42_sgpr43
	s_branch .LBB7_13
.LBB7_11:                               ;   in Loop: Header=BB7_13 Depth=1
	s_or_b64 exec, exec, s[8:9]
	s_andn2_b64 s[8:9], s[42:43], exec
	s_and_b64 s[42:43], s[44:45], exec
	s_or_b64 s[42:43], s[8:9], s[42:43]
.LBB7_12:                               ;   in Loop: Header=BB7_13 Depth=1
	s_or_b64 exec, exec, s[46:47]
	v_add_u32_e32 v12, 1, v12
	v_cmp_ge_i32_e32 vcc, v12, v8
	s_xor_b64 s[6:7], s[6:7], -1
	s_or_b64 s[6:7], s[6:7], vcc
	s_and_b64 s[6:7], exec, s[6:7]
	s_or_b64 s[38:39], s[6:7], s[38:39]
	s_andn2_b64 s[6:7], s[40:41], exec
	s_and_b64 s[8:9], s[42:43], exec
	v_add_u32_e32 v9, s63, v9
	s_or_b64 s[40:41], s[6:7], s[8:9]
	s_mov_b64 s[44:45], s[42:43]
	s_andn2_b64 exec, exec, s[38:39]
	s_cbranch_execz .LBB7_82
.LBB7_13:                               ; =>This Loop Header: Depth=1
                                        ;     Child Loop BB7_17 Depth 2
                                        ;       Child Loop BB7_18 Depth 3
                                        ;     Child Loop BB7_23 Depth 2
                                        ;       Child Loop BB7_28 Depth 3
                                        ;         Child Loop BB7_38 Depth 4
                                        ;     Child Loop BB7_56 Depth 2
                                        ;       Child Loop BB7_61 Depth 3
                                        ;       Child Loop BB7_68 Depth 3
                                        ;         Child Loop BB7_71 Depth 4
                                        ;           Child Loop BB7_73 Depth 5
	v_ashrrev_i32_e32 v13, 31, v12
	v_lshlrev_b64 v[18:19], 2, v[12:13]
	v_add_co_u32_e32 v18, vcc, s10, v18
	v_addc_co_u32_e32 v19, vcc, v3, v19, vcc
	global_load_dword v13, v[18:19], off
	s_or_b64 s[42:43], s[42:43], exec
	s_waitcnt vmcnt(0)
	v_subrev_u32_e32 v18, s24, v13
	v_ashrrev_i32_e32 v19, 31, v18
	v_lshlrev_b64 v[18:19], 2, v[18:19]
	s_waitcnt lgkmcnt(0)
	v_add_co_u32_e32 v20, vcc, s14, v18
	v_addc_co_u32_e32 v21, vcc, v15, v19, vcc
	global_load_dword v23, v[20:21], off
	s_waitcnt vmcnt(0)
	v_cmp_ne_u32_e64 s[6:7], -1, v23
	s_and_saveexec_b64 s[46:47], s[6:7]
	s_cbranch_execz .LBB7_12
; %bb.14:                               ;   in Loop: Header=BB7_13 Depth=1
	v_mov_b32_e32 v13, s60
	v_add_co_u32_e32 v20, vcc, s33, v18
	v_addc_co_u32_e32 v21, vcc, v13, v19, vcc
	v_mov_b32_e32 v13, s21
	v_add_co_u32_e32 v18, vcc, s20, v18
	v_addc_co_u32_e32 v19, vcc, v13, v19, vcc
	global_load_dword v34, v[20:21], off
	global_load_dword v13, v[18:19], off glc
	s_waitcnt vmcnt(0)
	v_cmp_eq_u32_e32 vcc, 0, v13
	s_and_saveexec_b64 s[8:9], vcc
	s_cbranch_execz .LBB7_19
; %bb.15:                               ;   in Loop: Header=BB7_13 Depth=1
	s_mov_b32 s15, 0
	s_mov_b64 s[48:49], 0
	s_branch .LBB7_17
.LBB7_16:                               ;   in Loop: Header=BB7_17 Depth=2
	global_load_dword v13, v[18:19], off glc
	s_cmpk_lt_u32 s15, 0xf43
	s_cselect_b64 s[50:51], -1, 0
	s_cmp_lg_u64 s[50:51], 0
	s_addc_u32 s15, s15, 0
	s_waitcnt vmcnt(0)
	v_cmp_ne_u32_e32 vcc, 0, v13
	s_or_b64 s[48:49], vcc, s[48:49]
	s_andn2_b64 exec, exec, s[48:49]
	s_cbranch_execz .LBB7_19
.LBB7_17:                               ;   Parent Loop BB7_13 Depth=1
                                        ; =>  This Loop Header: Depth=2
                                        ;       Child Loop BB7_18 Depth 3
	s_cmp_eq_u32 s15, 0
	s_mov_b32 s50, s15
	s_cbranch_scc1 .LBB7_16
.LBB7_18:                               ;   Parent Loop BB7_13 Depth=1
                                        ;     Parent Loop BB7_17 Depth=2
                                        ; =>    This Inner Loop Header: Depth=3
	s_add_i32 s50, s50, -1
	s_cmp_eq_u32 s50, 0
	s_sleep 1
	s_cbranch_scc0 .LBB7_18
	s_branch .LBB7_16
.LBB7_19:                               ;   in Loop: Header=BB7_13 Depth=1
	s_or_b64 exec, exec, s[8:9]
	s_andn2_b64 vcc, exec, s[34:35]
	v_mul_lo_u32 v13, v12, s25
	buffer_wbinvl1_vol
	s_cbranch_vccnz .LBB7_52
; %bb.20:                               ;   in Loop: Header=BB7_13 Depth=1
	v_mul_lo_u32 v19, v23, s25
	s_mov_b64 s[48:49], 0
	v_mov_b32_e32 v18, 0
	s_branch .LBB7_23
.LBB7_21:                               ;   in Loop: Header=BB7_23 Depth=2
	s_or_b64 exec, exec, s[52:53]
	v_mov_b32_e32 v18, v35
.LBB7_22:                               ;   in Loop: Header=BB7_23 Depth=2
	s_or_b64 exec, exec, s[50:51]
	v_cmp_eq_u32_e32 vcc, s25, v18
	s_or_b64 s[48:49], vcc, s[48:49]
	s_andn2_b64 exec, exec, s[48:49]
	s_cbranch_execz .LBB7_51
.LBB7_23:                               ;   Parent Loop BB7_13 Depth=1
                                        ; =>  This Loop Header: Depth=2
                                        ;       Child Loop BB7_28 Depth 3
                                        ;         Child Loop BB7_38 Depth 4
	v_add_u32_e32 v35, 1, v18
	s_and_saveexec_b64 s[8:9], s[2:3]
	s_xor_b64 s[8:9], exec, s[8:9]
; %bb.24:                               ;   in Loop: Header=BB7_23 Depth=2
	v_add_u32_e32 v18, 1, v18
                                        ; implicit-def: $vgpr35
; %bb.25:                               ;   in Loop: Header=BB7_23 Depth=2
	s_andn2_saveexec_b64 s[50:51], s[8:9]
	s_cbranch_execz .LBB7_22
; %bb.26:                               ;   in Loop: Header=BB7_23 Depth=2
	v_add_u32_e32 v20, v18, v19
	v_mul_lo_u32 v36, v20, s25
	v_add_u32_e32 v20, v36, v18
	v_ashrrev_i32_e32 v21, 31, v20
	v_lshlrev_b64 v[20:21], 3, v[20:21]
	v_mov_b32_e32 v22, s13
	v_add_co_u32_e32 v20, vcc, s12, v20
	v_addc_co_u32_e32 v21, vcc, v22, v21, vcc
	global_load_dwordx2 v[20:21], v[20:21], off
	v_add_u32_e32 v22, v18, v13
	v_mul_lo_u32 v37, v22, s25
	v_cmp_gt_i32_e64 s[8:9], s25, v35
	s_mov_b64 s[52:53], 0
	v_mov_b32_e32 v38, v9
	v_mov_b32_e32 v22, v0
	s_branch .LBB7_28
.LBB7_27:                               ;   in Loop: Header=BB7_28 Depth=3
	s_or_b64 exec, exec, s[54:55]
	v_add_u32_e32 v22, 64, v22
	v_cmp_le_i32_e32 vcc, s25, v22
	s_or_b64 s[52:53], vcc, s[52:53]
	v_add_u32_e32 v38, s64, v38
	s_andn2_b64 exec, exec, s[52:53]
	s_cbranch_execz .LBB7_21
.LBB7_28:                               ;   Parent Loop BB7_13 Depth=1
                                        ;     Parent Loop BB7_23 Depth=2
                                        ; =>    This Loop Header: Depth=3
                                        ;         Child Loop BB7_38 Depth 4
	s_and_b64 vcc, exec, s[36:37]
	v_add_u32_e32 v26, v22, v37
	s_cbranch_vccz .LBB7_49
; %bb.29:                               ;   in Loop: Header=BB7_28 Depth=3
	v_add_u32_e32 v24, v22, v37
	v_add_u32_e32 v27, v22, v13
	s_cbranch_execnz .LBB7_31
.LBB7_30:                               ;   in Loop: Header=BB7_28 Depth=3
	v_mad_u64_u32 v[24:25], s[54:55], v27, s25, v[18:19]
.LBB7_31:                               ;   in Loop: Header=BB7_28 Depth=3
	v_ashrrev_i32_e32 v25, 31, v24
	v_lshlrev_b64 v[24:25], 3, v[24:25]
	v_mov_b32_e32 v28, s13
	v_add_co_u32_e32 v24, vcc, s12, v24
	v_addc_co_u32_e32 v25, vcc, v28, v25, vcc
	global_load_dwordx2 v[24:25], v[24:25], off
	s_and_b64 vcc, exec, s[36:37]
	s_cbranch_vccz .LBB7_50
; %bb.32:                               ;   in Loop: Header=BB7_28 Depth=3
	s_cbranch_execnz .LBB7_34
.LBB7_33:                               ;   in Loop: Header=BB7_28 Depth=3
	v_mad_u64_u32 v[26:27], s[54:55], v27, s25, v[18:19]
.LBB7_34:                               ;   in Loop: Header=BB7_28 Depth=3
	s_waitcnt vmcnt(0)
	v_div_scale_f64 v[28:29], s[54:55], v[20:21], v[20:21], v[24:25]
	v_rcp_f64_e32 v[30:31], v[28:29]
	v_div_scale_f64 v[40:41], vcc, v[24:25], v[20:21], v[24:25]
	v_ashrrev_i32_e32 v27, 31, v26
	v_fma_f64 v[42:43], -v[28:29], v[30:31], 1.0
	v_fmac_f64_e32 v[30:31], v[30:31], v[42:43]
	v_fma_f64 v[42:43], -v[28:29], v[30:31], 1.0
	v_fmac_f64_e32 v[30:31], v[30:31], v[42:43]
	v_mul_f64 v[42:43], v[40:41], v[30:31]
	v_fma_f64 v[28:29], -v[28:29], v[42:43], v[40:41]
	v_div_fmas_f64 v[28:29], v[28:29], v[30:31], v[42:43]
	v_lshlrev_b64 v[26:27], 3, v[26:27]
	v_div_fixup_f64 v[24:25], v[28:29], v[20:21], v[24:25]
	v_mov_b32_e32 v28, s13
	v_add_co_u32_e32 v26, vcc, s12, v26
	v_addc_co_u32_e32 v27, vcc, v28, v27, vcc
	global_store_dwordx2 v[26:27], v[24:25], off
	s_and_saveexec_b64 s[54:55], s[8:9]
	s_cbranch_execz .LBB7_27
; %bb.35:                               ;   in Loop: Header=BB7_28 Depth=3
	s_mov_b64 s[56:57], 0
	v_mov_b32_e32 v39, v35
	s_branch .LBB7_38
.LBB7_36:                               ;   in Loop: Header=BB7_38 Depth=4
	v_mov_b32_e32 v30, v40
.LBB7_37:                               ;   in Loop: Header=BB7_38 Depth=4
	v_ashrrev_i32_e32 v31, 31, v30
	s_waitcnt vmcnt(0)
	v_fma_f64 v[26:27], -v[24:25], v[26:27], v[28:29]
	v_lshlrev_b64 v[28:29], 3, v[30:31]
	v_mov_b32_e32 v30, s13
	v_add_co_u32_e32 v28, vcc, s12, v28
	v_addc_co_u32_e32 v29, vcc, v30, v29, vcc
	v_add_u32_e32 v39, 1, v39
	v_cmp_le_i32_e32 vcc, s25, v39
	s_or_b64 s[56:57], vcc, s[56:57]
	global_store_dwordx2 v[28:29], v[26:27], off
	s_andn2_b64 exec, exec, s[56:57]
	s_cbranch_execz .LBB7_27
.LBB7_38:                               ;   Parent Loop BB7_13 Depth=1
                                        ;     Parent Loop BB7_23 Depth=2
                                        ;       Parent Loop BB7_28 Depth=3
                                        ; =>      This Inner Loop Header: Depth=4
	s_and_b64 vcc, exec, s[36:37]
	s_cbranch_vccz .LBB7_46
; %bb.39:                               ;   in Loop: Header=BB7_38 Depth=4
	v_add_u32_e32 v26, v39, v19
	v_mad_u64_u32 v[26:27], s[58:59], v26, s25, v[18:19]
	s_cbranch_execnz .LBB7_41
.LBB7_40:                               ;   in Loop: Header=BB7_38 Depth=4
	v_add_u32_e32 v26, v36, v39
.LBB7_41:                               ;   in Loop: Header=BB7_38 Depth=4
	v_ashrrev_i32_e32 v27, 31, v26
	v_lshlrev_b64 v[26:27], 3, v[26:27]
	v_mov_b32_e32 v28, s13
	v_add_co_u32_e32 v26, vcc, s12, v26
	v_addc_co_u32_e32 v27, vcc, v28, v27, vcc
	global_load_dwordx2 v[26:27], v[26:27], off
	s_and_b64 vcc, exec, s[36:37]
	v_add_u32_e32 v30, v39, v13
	s_cbranch_vccz .LBB7_47
; %bb.42:                               ;   in Loop: Header=BB7_38 Depth=4
	v_mad_u64_u32 v[28:29], s[58:59], v30, s25, v[22:23]
	v_add_u32_e32 v40, v38, v39
	s_cbranch_execnz .LBB7_44
.LBB7_43:                               ;   in Loop: Header=BB7_38 Depth=4
	v_add_u32_e32 v28, v38, v39
.LBB7_44:                               ;   in Loop: Header=BB7_38 Depth=4
	v_ashrrev_i32_e32 v29, 31, v28
	v_lshlrev_b64 v[28:29], 3, v[28:29]
	v_mov_b32_e32 v31, s13
	v_add_co_u32_e32 v28, vcc, s12, v28
	v_addc_co_u32_e32 v29, vcc, v31, v29, vcc
	global_load_dwordx2 v[28:29], v[28:29], off
	s_and_b64 vcc, exec, s[36:37]
	s_cbranch_vccz .LBB7_48
; %bb.45:                               ;   in Loop: Header=BB7_38 Depth=4
	v_mad_u64_u32 v[30:31], s[58:59], v30, s25, v[22:23]
	s_cbranch_execnz .LBB7_37
	s_branch .LBB7_36
.LBB7_46:                               ;   in Loop: Header=BB7_38 Depth=4
                                        ; implicit-def: $vgpr26
	s_branch .LBB7_40
.LBB7_47:                               ;   in Loop: Header=BB7_38 Depth=4
                                        ; implicit-def: $vgpr28
	v_add_u32_e32 v40, v38, v39
	s_branch .LBB7_43
.LBB7_48:                               ;   in Loop: Header=BB7_38 Depth=4
                                        ; implicit-def: $vgpr30
	s_branch .LBB7_36
.LBB7_49:                               ;   in Loop: Header=BB7_28 Depth=3
                                        ; implicit-def: $vgpr24
	v_add_u32_e32 v27, v22, v13
	s_branch .LBB7_30
.LBB7_50:                               ;   in Loop: Header=BB7_28 Depth=3
                                        ; implicit-def: $vgpr26
	s_branch .LBB7_33
.LBB7_51:                               ;   in Loop: Header=BB7_13 Depth=1
	s_or_b64 exec, exec, s[48:49]
.LBB7_52:                               ;   in Loop: Header=BB7_13 Depth=1
	v_subrev_u32_e32 v28, s24, v34
	v_add_u32_e32 v18, 1, v23
	v_cmp_lt_i32_e32 vcc, v18, v28
	s_and_saveexec_b64 s[8:9], vcc
	s_cbranch_execz .LBB7_11
; %bb.53:                               ;   in Loop: Header=BB7_13 Depth=1
	v_mul_lo_u32 v29, s63, v18
	s_mov_b64 s[48:49], 0
	s_branch .LBB7_56
.LBB7_54:                               ;   in Loop: Header=BB7_56 Depth=2
	s_or_b64 exec, exec, s[50:51]
.LBB7_55:                               ;   in Loop: Header=BB7_56 Depth=2
	v_add_u32_e32 v18, 1, v18
	v_cmp_ge_i32_e32 vcc, v18, v28
	s_or_b64 s[48:49], vcc, s[48:49]
	v_add_u32_e32 v29, s63, v29
	s_andn2_b64 exec, exec, s[48:49]
	s_cbranch_execz .LBB7_11
.LBB7_56:                               ;   Parent Loop BB7_13 Depth=1
                                        ; =>  This Loop Header: Depth=2
                                        ;       Child Loop BB7_61 Depth 3
                                        ;       Child Loop BB7_68 Depth 3
                                        ;         Child Loop BB7_71 Depth 4
                                        ;           Child Loop BB7_73 Depth 5
	v_ashrrev_i32_e32 v19, 31, v18
	s_waitcnt lgkmcnt(0)
	v_lshlrev_b64 v[20:21], 2, v[18:19]
	v_mov_b32_e32 v19, s11
	v_add_co_u32_e32 v20, vcc, s10, v20
	v_addc_co_u32_e32 v21, vcc, v19, v21, vcc
	global_load_dword v19, v[20:21], off
	v_mov_b32_e32 v21, s27
	s_and_saveexec_b64 s[50:51], s[4:5]
	s_cbranch_execz .LBB7_58
; %bb.57:                               ;   in Loop: Header=BB7_56 Depth=2
	global_load_dword v20, v[16:17], off
	s_waitcnt vmcnt(0)
	v_subrev_u32_e32 v21, s24, v20
.LBB7_58:                               ;   in Loop: Header=BB7_56 Depth=2
	s_or_b64 exec, exec, s[50:51]
	s_waitcnt vmcnt(0)
	v_subrev_u32_e32 v19, s24, v19
	v_cmp_lt_i32_e32 vcc, v21, v19
	v_mov_b32_e32 v22, v14
	s_and_saveexec_b64 s[50:51], vcc
	s_cbranch_execz .LBB7_64
; %bb.59:                               ;   in Loop: Header=BB7_56 Depth=2
	s_mov_b64 s[52:53], 0
	v_mov_b32_e32 v20, v14
	s_branch .LBB7_61
.LBB7_60:                               ;   in Loop: Header=BB7_61 Depth=3
	s_or_b64 exec, exec, s[54:55]
	v_cmp_ge_i32_e32 vcc, v21, v19
	s_or_b64 s[52:53], vcc, s[52:53]
	v_mov_b32_e32 v20, v22
	s_andn2_b64 exec, exec, s[52:53]
	s_cbranch_execz .LBB7_63
.LBB7_61:                               ;   Parent Loop BB7_13 Depth=1
                                        ;     Parent Loop BB7_56 Depth=2
                                        ; =>    This Inner Loop Header: Depth=3
	v_add_u32_e32 v22, 64, v20
	v_cmp_lt_i32_e32 vcc, v22, v1
	v_mov_b32_e32 v21, s27
	s_and_saveexec_b64 s[54:55], vcc
	s_cbranch_execz .LBB7_60
; %bb.62:                               ;   in Loop: Header=BB7_61 Depth=3
	v_ashrrev_i32_e32 v21, 31, v20
	v_lshlrev_b64 v[20:21], 2, v[20:21]
	v_mov_b32_e32 v23, s62
	v_add_co_u32_e32 v20, vcc, s61, v20
	v_addc_co_u32_e32 v21, vcc, v23, v21, vcc
	global_load_dword v20, v[20:21], off
	s_waitcnt vmcnt(0)
	v_subrev_u32_e32 v21, s24, v20
	s_branch .LBB7_60
.LBB7_63:                               ;   in Loop: Header=BB7_56 Depth=2
	s_or_b64 exec, exec, s[52:53]
.LBB7_64:                               ;   in Loop: Header=BB7_56 Depth=2
	s_or_b64 exec, exec, s[50:51]
	v_cmp_eq_u32_e32 vcc, v21, v19
	s_cbranch_vccz .LBB7_55
; %bb.65:                               ;   in Loop: Header=BB7_56 Depth=2
	s_ff1_i32_b64 s15, vcc
	v_and_or_b32 v19, v33, 64, s15
	v_lshlrev_b32_e32 v19, 2, v19
	ds_bpermute_b32 v20, v19, v22
	s_and_saveexec_b64 s[50:51], s[0:1]
	s_cbranch_execz .LBB7_54
; %bb.66:                               ;   in Loop: Header=BB7_56 Depth=2
	v_mul_lo_u32 v19, v18, s25
	s_waitcnt lgkmcnt(0)
	v_mul_lo_u32 v21, v20, s25
	s_mov_b64 s[52:53], 0
	v_mov_b32_e32 v30, v9
	v_mov_b32_e32 v20, v0
	s_branch .LBB7_68
.LBB7_67:                               ;   in Loop: Header=BB7_68 Depth=3
	v_add_u32_e32 v20, 64, v20
	v_cmp_le_i32_e32 vcc, s25, v20
	s_or_b64 s[52:53], vcc, s[52:53]
	v_add_u32_e32 v30, s64, v30
	s_andn2_b64 exec, exec, s[52:53]
	s_cbranch_execz .LBB7_54
.LBB7_68:                               ;   Parent Loop BB7_13 Depth=1
                                        ;     Parent Loop BB7_56 Depth=2
                                        ; =>    This Loop Header: Depth=3
                                        ;         Child Loop BB7_71 Depth 4
                                        ;           Child Loop BB7_73 Depth 5
	v_add_u32_e32 v22, v20, v21
	v_mul_lo_u32 v31, v22, s25
	s_mov_b32 s15, 0
	v_mov_b32_e32 v34, v29
	s_branch .LBB7_71
.LBB7_69:                               ;   in Loop: Header=BB7_71 Depth=4
	v_add_u32_e32 v24, s15, v31
.LBB7_70:                               ;   in Loop: Header=BB7_71 Depth=4
	v_ashrrev_i32_e32 v25, 31, v24
	v_lshlrev_b64 v[24:25], 3, v[24:25]
	v_mov_b32_e32 v26, s13
	v_add_co_u32_e32 v24, vcc, s12, v24
	v_addc_co_u32_e32 v25, vcc, v26, v25, vcc
	global_load_dwordx2 v[26:27], v[24:25], off
	s_add_i32 s15, s15, 1
	s_cmp_eq_u32 s15, s25
	v_add_u32_e32 v34, 1, v34
	s_waitcnt vmcnt(0)
	v_add_f64 v[22:23], v[26:27], -v[22:23]
	global_store_dwordx2 v[24:25], v[22:23], off
	s_cbranch_scc1 .LBB7_67
.LBB7_71:                               ;   Parent Loop BB7_13 Depth=1
                                        ;     Parent Loop BB7_56 Depth=2
                                        ;       Parent Loop BB7_68 Depth=3
                                        ; =>      This Loop Header: Depth=4
                                        ;           Child Loop BB7_73 Depth 5
	v_add_u32_e32 v22, s15, v19
	v_mul_lo_u32 v35, v22, s25
	v_pk_mov_b32 v[22:23], 0, 0
	v_mov_b32_e32 v36, v34
	s_mov_b32 s56, 0
	s_branch .LBB7_73
.LBB7_72:                               ;   in Loop: Header=BB7_73 Depth=5
	v_ashrrev_i32_e32 v27, 31, v26
	v_lshlrev_b64 v[26:27], 3, v[26:27]
	v_mov_b32_e32 v37, s13
	v_add_co_u32_e32 v26, vcc, s12, v26
	v_addc_co_u32_e32 v27, vcc, v37, v27, vcc
	global_load_dwordx2 v[26:27], v[26:27], off
	s_add_i32 s56, s56, 1
	s_cmp_eq_u32 s25, s56
	v_add_u32_e32 v36, s25, v36
	s_waitcnt vmcnt(0)
	v_fmac_f64_e32 v[22:23], v[24:25], v[26:27]
	s_cbranch_scc1 .LBB7_79
.LBB7_73:                               ;   Parent Loop BB7_13 Depth=1
                                        ;     Parent Loop BB7_56 Depth=2
                                        ;       Parent Loop BB7_68 Depth=3
                                        ;         Parent Loop BB7_71 Depth=4
                                        ; =>        This Inner Loop Header: Depth=5
	s_and_b64 vcc, exec, s[36:37]
	s_cbranch_vccz .LBB7_78
; %bb.74:                               ;   in Loop: Header=BB7_73 Depth=5
	v_add_u32_e32 v24, s56, v13
	v_mad_u64_u32 v[24:25], s[54:55], v24, s25, v[20:21]
	s_cbranch_execnz .LBB7_76
.LBB7_75:                               ;   in Loop: Header=BB7_73 Depth=5
	v_add_u32_e32 v24, s56, v30
.LBB7_76:                               ;   in Loop: Header=BB7_73 Depth=5
	v_ashrrev_i32_e32 v25, 31, v24
	v_lshlrev_b64 v[24:25], 3, v[24:25]
	v_mov_b32_e32 v26, s13
	v_add_co_u32_e32 v24, vcc, s12, v24
	v_addc_co_u32_e32 v25, vcc, v26, v25, vcc
	global_load_dwordx2 v[24:25], v[24:25], off
	s_andn2_b64 vcc, exec, s[36:37]
	v_mov_b32_e32 v26, v36
	s_cbranch_vccnz .LBB7_72
; %bb.77:                               ;   in Loop: Header=BB7_73 Depth=5
	v_add_u32_e32 v26, s56, v35
	s_branch .LBB7_72
.LBB7_78:                               ;   in Loop: Header=BB7_73 Depth=5
                                        ; implicit-def: $vgpr24
	s_branch .LBB7_75
.LBB7_79:                               ;   in Loop: Header=BB7_71 Depth=4
	s_and_b64 vcc, exec, s[36:37]
	s_cbranch_vccz .LBB7_81
; %bb.80:                               ;   in Loop: Header=BB7_71 Depth=4
	v_add_u32_e32 v24, s15, v21
	v_mad_u64_u32 v[24:25], s[54:55], v24, s25, v[20:21]
	s_cbranch_execnz .LBB7_70
	s_branch .LBB7_69
.LBB7_81:                               ;   in Loop: Header=BB7_71 Depth=4
                                        ; implicit-def: $vgpr24
	s_branch .LBB7_69
.LBB7_82:
	s_or_b64 exec, exec, s[38:39]
	s_and_b64 s[6:7], s[40:41], exec
.LBB7_83:
	s_or_b64 exec, exec, s[30:31]
	v_ashrrev_i32_e32 v9, 31, v8
	v_lshlrev_b64 v[12:13], 2, v[8:9]
	v_mov_b32_e32 v3, s11
	v_add_co_u32_e32 v12, vcc, s10, v12
	v_addc_co_u32_e32 v13, vcc, v3, v13, vcc
	global_load_dword v3, v[12:13], off
	s_waitcnt lgkmcnt(0)
	s_cmp_gt_i32 s25, 0
	s_cselect_b64 s[8:9], -1, 0
	s_waitcnt vmcnt(0)
	v_subrev_u32_e32 v3, s24, v3
	v_cmp_eq_u32_e32 vcc, v3, v2
	s_and_b64 s[0:1], s[8:9], vcc
	s_and_saveexec_b64 s[10:11], s[0:1]
	s_cbranch_execz .LBB7_123
; %bb.84:
	s_cmp_eq_u64 s[16:17], 8
	v_cvt_f64_f32_e32 v[12:13], v32
	s_cselect_b64 vcc, -1, 0
	s_cmp_lg_u32 s26, 0
	v_mul_lo_u32 v3, v8, s25
	v_cndmask_b32_e64 v14, 0, 1, s[28:29]
	v_cndmask_b32_e32 v11, v13, v11, vcc
	v_cndmask_b32_e32 v10, v12, v10, vcc
	s_cselect_b64 s[14:15], -1, 0
	v_cmp_eq_u32_e64 s[0:1], 0, v0
	v_add3_u32 v9, v3, v0, 1
	s_lshl_b32 s27, s25, 6
	s_mov_b64 s[16:17], 0
	v_mov_b32_e32 v12, 0
	v_mov_b32_e32 v13, s13
	v_cmp_ne_u32_e64 s[2:3], 1, v14
	s_mov_b64 s[30:31], s[6:7]
                                        ; implicit-def: $sgpr28_sgpr29
	s_branch .LBB7_86
.LBB7_85:                               ;   in Loop: Header=BB7_86 Depth=1
	s_or_b64 exec, exec, s[4:5]
	v_cmp_eq_u32_e32 vcc, s25, v17
	s_or_b64 s[16:17], vcc, s[16:17]
	s_andn2_b64 s[4:5], s[28:29], exec
	s_and_b64 s[28:29], s[30:31], exec
	s_or_b64 s[28:29], s[4:5], s[28:29]
	v_mov_b32_e32 v12, v17
	s_andn2_b64 exec, exec, s[16:17]
	s_cbranch_execz .LBB7_122
.LBB7_86:                               ; =>This Loop Header: Depth=1
                                        ;     Child Loop BB7_96 Depth 2
                                        ;       Child Loop BB7_106 Depth 3
	v_add_u32_e32 v14, v12, v3
	v_mul_lo_u32 v26, v14, s25
	v_add_u32_e32 v14, v26, v12
	v_ashrrev_i32_e32 v15, 31, v14
	v_lshlrev_b64 v[14:15], 3, v[14:15]
	v_add_co_u32_e32 v18, vcc, s12, v14
	v_addc_co_u32_e32 v19, vcc, v13, v15, vcc
	global_load_dwordx2 v[14:15], v[18:19], off
	s_and_b64 vcc, exec, s[2:3]
	s_cbranch_vccnz .LBB7_91
; %bb.87:                               ;   in Loop: Header=BB7_86 Depth=1
	s_waitcnt vmcnt(0)
	v_xor_b32_e32 v16, 0x80000000, v15
	v_cmp_gt_f64_e32 vcc, 0, v[14:15]
	v_cndmask_b32_e32 v17, v15, v16, vcc
	v_cndmask_b32_e32 v16, v14, v14, vcc
	v_cmp_le_f64_e32 vcc, v[16:17], v[10:11]
	v_cndmask_b32_e32 v17, v15, v7, vcc
	v_cndmask_b32_e32 v16, v14, v6, vcc
	s_and_saveexec_b64 s[4:5], s[0:1]
	s_cbranch_execz .LBB7_89
; %bb.88:                               ;   in Loop: Header=BB7_86 Depth=1
	global_store_dwordx2 v[18:19], v[16:17], off
.LBB7_89:                               ;   in Loop: Header=BB7_86 Depth=1
	s_or_b64 exec, exec, s[4:5]
	s_mov_b64 s[4:5], -1
	s_mov_b64 s[34:35], 0
	s_cbranch_execz .LBB7_92
; %bb.90:                               ;   in Loop: Header=BB7_86 Depth=1
	s_waitcnt vmcnt(0)
	v_pk_mov_b32 v[14:15], v[16:17], v[16:17] op_sel:[0,1]
                                        ; implicit-def: $sgpr38_sgpr39
                                        ; implicit-def: $vgpr17
	s_and_saveexec_b64 s[36:37], s[4:5]
	s_xor_b64 s[36:37], exec, s[36:37]
	s_cbranch_execz .LBB7_120
	s_branch .LBB7_93
.LBB7_91:                               ;   in Loop: Header=BB7_86 Depth=1
	s_mov_b64 s[4:5], 0
                                        ; implicit-def: $vgpr16_vgpr17
	s_mov_b64 s[34:35], 0
.LBB7_92:                               ;   in Loop: Header=BB7_86 Depth=1
	s_waitcnt vmcnt(0)
	v_cmp_neq_f64_e32 vcc, 0, v[14:15]
	s_andn2_b64 s[4:5], s[4:5], exec
	s_and_b64 s[36:37], vcc, exec
	s_mov_b64 s[34:35], -1
	s_or_b64 s[4:5], s[4:5], s[36:37]
                                        ; implicit-def: $sgpr38_sgpr39
                                        ; implicit-def: $vgpr17
	s_and_saveexec_b64 s[36:37], s[4:5]
	s_xor_b64 s[36:37], exec, s[36:37]
	s_cbranch_execz .LBB7_120
.LBB7_93:                               ;   in Loop: Header=BB7_86 Depth=1
	v_add_u32_e32 v17, 1, v12
	v_add_u32_e32 v16, v17, v0
	v_cmp_gt_i32_e32 vcc, s25, v16
	s_and_saveexec_b64 s[38:39], vcc
	s_cbranch_execz .LBB7_119
; %bb.94:                               ;   in Loop: Header=BB7_86 Depth=1
	v_add_u32_e32 v18, v9, v12
	v_cmp_gt_i32_e64 s[4:5], s25, v17
	v_mul_lo_u32 v27, s25, v18
	s_mov_b64 s[40:41], 0
	s_branch .LBB7_96
.LBB7_95:                               ;   in Loop: Header=BB7_96 Depth=2
	s_or_b64 exec, exec, s[42:43]
	v_add_u32_e32 v16, 64, v16
	v_cmp_le_i32_e32 vcc, s25, v16
	s_or_b64 s[40:41], vcc, s[40:41]
	v_add_u32_e32 v27, s27, v27
	s_andn2_b64 exec, exec, s[40:41]
	s_cbranch_execz .LBB7_119
.LBB7_96:                               ;   Parent Loop BB7_86 Depth=1
                                        ; =>  This Loop Header: Depth=2
                                        ;       Child Loop BB7_106 Depth 3
	s_and_b64 vcc, exec, s[14:15]
	v_add_u32_e32 v20, v16, v26
	s_cbranch_vccz .LBB7_117
; %bb.97:                               ;   in Loop: Header=BB7_96 Depth=2
	v_add_u32_e32 v18, v16, v26
	s_cbranch_execnz .LBB7_99
.LBB7_98:                               ;   in Loop: Header=BB7_96 Depth=2
	v_add_u32_e32 v18, v16, v3
	v_mad_u64_u32 v[18:19], s[42:43], v18, s25, v[12:13]
.LBB7_99:                               ;   in Loop: Header=BB7_96 Depth=2
	v_ashrrev_i32_e32 v19, 31, v18
	v_lshlrev_b64 v[18:19], 3, v[18:19]
	v_add_co_u32_e32 v18, vcc, s12, v18
	v_addc_co_u32_e32 v19, vcc, v13, v19, vcc
	global_load_dwordx2 v[18:19], v[18:19], off
	s_and_b64 vcc, exec, s[14:15]
	s_cbranch_vccz .LBB7_118
; %bb.100:                              ;   in Loop: Header=BB7_96 Depth=2
	s_cbranch_execnz .LBB7_102
.LBB7_101:                              ;   in Loop: Header=BB7_96 Depth=2
	v_add_u32_e32 v20, v16, v3
	v_mad_u64_u32 v[20:21], s[42:43], v20, s25, v[12:13]
.LBB7_102:                              ;   in Loop: Header=BB7_96 Depth=2
	s_waitcnt vmcnt(0)
	v_div_scale_f64 v[22:23], s[42:43], v[14:15], v[14:15], v[18:19]
	v_rcp_f64_e32 v[24:25], v[22:23]
	v_div_scale_f64 v[28:29], vcc, v[18:19], v[14:15], v[18:19]
	v_ashrrev_i32_e32 v21, 31, v20
	v_fma_f64 v[30:31], -v[22:23], v[24:25], 1.0
	v_fmac_f64_e32 v[24:25], v[24:25], v[30:31]
	v_fma_f64 v[30:31], -v[22:23], v[24:25], 1.0
	v_fmac_f64_e32 v[24:25], v[24:25], v[30:31]
	v_mul_f64 v[30:31], v[28:29], v[24:25]
	v_fma_f64 v[22:23], -v[22:23], v[30:31], v[28:29]
	v_div_fmas_f64 v[22:23], v[22:23], v[24:25], v[30:31]
	v_lshlrev_b64 v[20:21], 3, v[20:21]
	v_div_fixup_f64 v[18:19], v[22:23], v[14:15], v[18:19]
	v_mov_b32_e32 v22, s13
	v_add_co_u32_e32 v20, vcc, s12, v20
	v_addc_co_u32_e32 v21, vcc, v22, v21, vcc
	global_store_dwordx2 v[20:21], v[18:19], off
	s_and_saveexec_b64 s[42:43], s[4:5]
	s_cbranch_execz .LBB7_95
; %bb.103:                              ;   in Loop: Header=BB7_96 Depth=2
	s_mov_b64 s[44:45], 0
	v_mov_b32_e32 v28, v17
	s_branch .LBB7_106
.LBB7_104:                              ;   in Loop: Header=BB7_106 Depth=3
	v_add_u32_e32 v24, v27, v28
.LBB7_105:                              ;   in Loop: Header=BB7_106 Depth=3
	v_ashrrev_i32_e32 v25, 31, v24
	s_waitcnt vmcnt(0)
	v_fma_f64 v[20:21], -v[18:19], v[20:21], v[22:23]
	v_lshlrev_b64 v[22:23], 3, v[24:25]
	v_mov_b32_e32 v24, s13
	v_add_co_u32_e32 v22, vcc, s12, v22
	v_addc_co_u32_e32 v23, vcc, v24, v23, vcc
	v_add_u32_e32 v28, 1, v28
	v_cmp_le_i32_e32 vcc, s25, v28
	s_or_b64 s[44:45], vcc, s[44:45]
	global_store_dwordx2 v[22:23], v[20:21], off
	s_andn2_b64 exec, exec, s[44:45]
	s_cbranch_execz .LBB7_95
.LBB7_106:                              ;   Parent Loop BB7_86 Depth=1
                                        ;     Parent Loop BB7_96 Depth=2
                                        ; =>    This Inner Loop Header: Depth=3
	s_and_b64 vcc, exec, s[14:15]
	v_add_u32_e32 v24, v28, v3
	s_cbranch_vccz .LBB7_114
; %bb.107:                              ;   in Loop: Header=BB7_106 Depth=3
	v_mad_u64_u32 v[20:21], s[46:47], v24, s25, v[12:13]
	s_cbranch_execnz .LBB7_109
.LBB7_108:                              ;   in Loop: Header=BB7_106 Depth=3
	v_add_u32_e32 v20, v26, v28
.LBB7_109:                              ;   in Loop: Header=BB7_106 Depth=3
	v_ashrrev_i32_e32 v21, 31, v20
	v_lshlrev_b64 v[20:21], 3, v[20:21]
	v_mov_b32_e32 v22, s13
	v_add_co_u32_e32 v20, vcc, s12, v20
	v_addc_co_u32_e32 v21, vcc, v22, v21, vcc
	global_load_dwordx2 v[20:21], v[20:21], off
	s_and_b64 vcc, exec, s[14:15]
	s_cbranch_vccz .LBB7_115
; %bb.110:                              ;   in Loop: Header=BB7_106 Depth=3
	v_mad_u64_u32 v[22:23], s[46:47], v24, s25, v[16:17]
	s_cbranch_execnz .LBB7_112
.LBB7_111:                              ;   in Loop: Header=BB7_106 Depth=3
	v_add_u32_e32 v22, v27, v28
.LBB7_112:                              ;   in Loop: Header=BB7_106 Depth=3
	v_ashrrev_i32_e32 v23, 31, v22
	v_lshlrev_b64 v[22:23], 3, v[22:23]
	v_mov_b32_e32 v25, s13
	v_add_co_u32_e32 v22, vcc, s12, v22
	v_addc_co_u32_e32 v23, vcc, v25, v23, vcc
	global_load_dwordx2 v[22:23], v[22:23], off
	s_and_b64 vcc, exec, s[14:15]
	s_cbranch_vccz .LBB7_116
; %bb.113:                              ;   in Loop: Header=BB7_106 Depth=3
	v_mad_u64_u32 v[24:25], s[46:47], v24, s25, v[16:17]
	s_cbranch_execnz .LBB7_105
	s_branch .LBB7_104
.LBB7_114:                              ;   in Loop: Header=BB7_106 Depth=3
                                        ; implicit-def: $vgpr20
	s_branch .LBB7_108
.LBB7_115:                              ;   in Loop: Header=BB7_106 Depth=3
                                        ; implicit-def: $vgpr22
	s_branch .LBB7_111
.LBB7_116:                              ;   in Loop: Header=BB7_106 Depth=3
                                        ; implicit-def: $vgpr24
	s_branch .LBB7_104
.LBB7_117:                              ;   in Loop: Header=BB7_96 Depth=2
                                        ; implicit-def: $vgpr18
	s_branch .LBB7_98
.LBB7_118:                              ;   in Loop: Header=BB7_96 Depth=2
                                        ; implicit-def: $vgpr20
	s_branch .LBB7_101
.LBB7_119:                              ;   in Loop: Header=BB7_86 Depth=1
	s_or_b64 exec, exec, s[38:39]
	s_and_b64 s[38:39], s[30:31], exec
	s_andn2_b64 s[34:35], s[34:35], exec
.LBB7_120:                              ;   in Loop: Header=BB7_86 Depth=1
	s_or_b64 exec, exec, s[36:37]
	s_andn2_b64 s[4:5], s[30:31], exec
	s_and_b64 s[30:31], s[38:39], exec
	s_or_b64 s[30:31], s[4:5], s[30:31]
	s_and_saveexec_b64 s[4:5], s[34:35]
	s_cbranch_execz .LBB7_85
; %bb.121:                              ;   in Loop: Header=BB7_86 Depth=1
	v_add_u32_e32 v17, 1, v12
	s_or_b64 s[30:31], s[30:31], exec
	s_branch .LBB7_85
.LBB7_122:
	s_or_b64 exec, exec, s[16:17]
	s_andn2_b64 s[0:1], s[6:7], exec
	s_and_b64 s[2:3], s[28:29], exec
	s_or_b64 s[6:7], s[0:1], s[2:3]
.LBB7_123:
	s_or_b64 exec, exec, s[10:11]
	v_add_u32_e32 v3, 1, v8
	v_cmp_lt_i32_e32 vcc, v3, v1
	s_and_saveexec_b64 s[10:11], vcc
	s_cbranch_execz .LBB7_147
; %bb.124:
	v_mul_lo_u32 v14, v8, s25
	v_mul_lo_u32 v6, s25, v14
	s_mul_i32 s31, s25, s25
	v_add_u32_e32 v15, s25, v6
	v_mul_lo_u32 v6, s31, v3
	s_cmp_lg_u32 s26, 0
	v_add3_u32 v16, v6, s25, v0
	v_cndmask_b32_e64 v6, 0, 1, s[8:9]
	v_cmp_gt_i32_e64 s[0:1], s25, v0
	s_cselect_b64 s[14:15], -1, 0
	s_add_i32 s30, s25, 1
	s_mov_b64 s[16:17], 0
	v_cmp_ne_u32_e64 s[2:3], 1, v6
	s_branch .LBB7_126
.LBB7_125:                              ;   in Loop: Header=BB7_126 Depth=1
	v_add_u32_e32 v3, 1, v3
	v_cmp_ge_i32_e32 vcc, v3, v1
	s_or_b64 s[16:17], vcc, s[16:17]
	v_add_u32_e32 v16, s31, v16
	s_andn2_b64 exec, exec, s[16:17]
	s_cbranch_execz .LBB7_147
.LBB7_126:                              ; =>This Loop Header: Depth=1
                                        ;     Child Loop BB7_129 Depth 2
                                        ;       Child Loop BB7_132 Depth 3
                                        ;         Child Loop BB7_136 Depth 4
	s_and_b64 vcc, exec, s[2:3]
	s_cbranch_vccnz .LBB7_125
; %bb.127:                              ;   in Loop: Header=BB7_126 Depth=1
	v_mul_lo_u32 v17, v3, s25
	s_mov_b32 s33, 0
	v_mov_b32_e32 v18, v16
	v_mov_b32_e32 v19, v15
	s_branch .LBB7_129
.LBB7_128:                              ;   in Loop: Header=BB7_129 Depth=2
	s_or_b64 exec, exec, s[8:9]
	v_add_u32_e32 v19, s30, v19
	v_add_u32_e32 v18, s25, v18
	s_cmp_eq_u32 s34, s25
	s_mov_b32 s33, s34
	s_cbranch_scc1 .LBB7_125
.LBB7_129:                              ;   Parent Loop BB7_126 Depth=1
                                        ; =>  This Loop Header: Depth=2
                                        ;       Child Loop BB7_132 Depth 3
                                        ;         Child Loop BB7_136 Depth 4
	s_add_i32 s34, s33, 1
	s_and_saveexec_b64 s[8:9], s[0:1]
	s_cbranch_execz .LBB7_128
; %bb.130:                              ;   in Loop: Header=BB7_129 Depth=2
	s_cmp_lt_i32 s34, s25
	v_add_u32_e32 v6, s33, v14
	v_mul_lo_u32 v20, v6, s25
	v_add_u32_e32 v6, s33, v17
	s_cselect_b64 s[4:5], -1, 0
	v_mul_lo_u32 v21, v6, s25
	v_cndmask_b32_e64 v6, 0, 1, s[4:5]
	s_mov_b64 s[26:27], 0
	v_cmp_ne_u32_e64 s[4:5], 1, v6
	v_mov_b32_e32 v22, v18
	v_mov_b32_e32 v23, v0
	s_branch .LBB7_132
.LBB7_131:                              ;   in Loop: Header=BB7_132 Depth=3
	v_add_u32_e32 v23, 64, v23
	v_cmp_le_i32_e32 vcc, s25, v23
	s_or_b64 s[26:27], vcc, s[26:27]
	v_add_u32_e32 v22, 64, v22
	s_andn2_b64 exec, exec, s[26:27]
	s_cbranch_execz .LBB7_128
.LBB7_132:                              ;   Parent Loop BB7_126 Depth=1
                                        ;     Parent Loop BB7_129 Depth=2
                                        ; =>    This Loop Header: Depth=3
                                        ;         Child Loop BB7_136 Depth 4
	s_and_b64 vcc, exec, s[4:5]
	s_cbranch_vccnz .LBB7_131
; %bb.133:                              ;   in Loop: Header=BB7_132 Depth=3
	v_add_u32_e32 v6, v23, v17
	v_mul_lo_u32 v24, v6, s25
	v_add_u32_e32 v25, s33, v24
	v_add_u32_e32 v26, v23, v21
	s_mov_b32 s35, 0
	s_mov_b32 s36, s34
	s_branch .LBB7_136
.LBB7_134:                              ;   in Loop: Header=BB7_136 Depth=4
	v_mov_b32_e32 v10, v11
.LBB7_135:                              ;   in Loop: Header=BB7_136 Depth=4
	v_ashrrev_i32_e32 v11, 31, v10
	s_waitcnt vmcnt(0)
	v_fma_f64 v[6:7], -v[6:7], v[8:9], v[12:13]
	v_lshlrev_b64 v[8:9], 3, v[10:11]
	v_mov_b32_e32 v10, s13
	v_add_co_u32_e32 v8, vcc, s12, v8
	s_add_i32 s36, s36, 1
	s_add_i32 s35, s35, s25
	v_addc_co_u32_e32 v9, vcc, v10, v9, vcc
	s_cmp_ge_i32 s36, s25
	global_store_dwordx2 v[8:9], v[6:7], off
	s_cbranch_scc1 .LBB7_131
.LBB7_136:                              ;   Parent Loop BB7_126 Depth=1
                                        ;     Parent Loop BB7_129 Depth=2
                                        ;       Parent Loop BB7_132 Depth=3
                                        ; =>      This Inner Loop Header: Depth=4
	s_and_b64 vcc, exec, s[14:15]
	s_cbranch_vccz .LBB7_144
; %bb.137:                              ;   in Loop: Header=BB7_136 Depth=4
	v_add_u32_e32 v6, s36, v20
	v_mov_b32_e32 v8, v25
	s_cbranch_execnz .LBB7_139
.LBB7_138:                              ;   in Loop: Header=BB7_136 Depth=4
	v_add_u32_e32 v6, s35, v19
	v_mov_b32_e32 v8, v26
.LBB7_139:                              ;   in Loop: Header=BB7_136 Depth=4
	v_ashrrev_i32_e32 v7, 31, v6
	v_lshlrev_b64 v[6:7], 3, v[6:7]
	v_mov_b32_e32 v9, s13
	v_add_co_u32_e32 v10, vcc, s12, v6
	v_addc_co_u32_e32 v11, vcc, v9, v7, vcc
	v_ashrrev_i32_e32 v9, 31, v8
	v_lshlrev_b64 v[6:7], 3, v[8:9]
	v_mov_b32_e32 v8, s13
	v_add_co_u32_e32 v12, vcc, s12, v6
	v_addc_co_u32_e32 v13, vcc, v8, v7, vcc
	global_load_dwordx2 v[6:7], v[10:11], off
	global_load_dwordx2 v[8:9], v[12:13], off
	s_and_b64 vcc, exec, s[14:15]
	v_add_u32_e32 v10, s36, v24
	s_cbranch_vccz .LBB7_145
; %bb.140:                              ;   in Loop: Header=BB7_136 Depth=4
	v_add_u32_e32 v12, s36, v24
	v_add_u32_e32 v11, s35, v22
	s_cbranch_execnz .LBB7_142
.LBB7_141:                              ;   in Loop: Header=BB7_136 Depth=4
	v_add_u32_e32 v12, s35, v22
.LBB7_142:                              ;   in Loop: Header=BB7_136 Depth=4
	v_ashrrev_i32_e32 v13, 31, v12
	v_lshlrev_b64 v[12:13], 3, v[12:13]
	v_mov_b32_e32 v27, s13
	v_add_co_u32_e32 v12, vcc, s12, v12
	v_addc_co_u32_e32 v13, vcc, v27, v13, vcc
	global_load_dwordx2 v[12:13], v[12:13], off
	s_and_b64 vcc, exec, s[14:15]
	s_cbranch_vccz .LBB7_146
; %bb.143:                              ;   in Loop: Header=BB7_136 Depth=4
	s_cbranch_execnz .LBB7_135
	s_branch .LBB7_134
.LBB7_144:                              ;   in Loop: Header=BB7_136 Depth=4
                                        ; implicit-def: $vgpr6
	v_mov_b32_e32 v8, v25
	s_branch .LBB7_138
.LBB7_145:                              ;   in Loop: Header=BB7_136 Depth=4
                                        ; implicit-def: $vgpr12
	v_add_u32_e32 v11, s35, v22
	s_branch .LBB7_141
.LBB7_146:                              ;   in Loop: Header=BB7_136 Depth=4
                                        ; implicit-def: $vgpr10
	s_branch .LBB7_134
.LBB7_147:
	s_or_b64 exec, exec, s[10:11]
	s_orn2_b64 s[0:1], s[6:7], exec
.LBB7_148:
	s_or_b64 exec, exec, s[22:23]
	v_cmp_eq_u32_e32 vcc, 0, v0
	s_and_b64 exec, exec, vcc
	s_cbranch_execz .LBB7_154
; %bb.149:
	v_mov_b32_e32 v1, s21
	v_add_co_u32_e32 v0, vcc, s20, v4
	v_addc_co_u32_e32 v1, vcc, v1, v5, vcc
	v_mov_b32_e32 v3, 1
	s_waitcnt vmcnt(0)
	global_store_dword v[0:1], v3, off
	s_and_b64 exec, exec, s[0:1]
	s_cbranch_execz .LBB7_154
; %bb.150:
	s_mov_b64 s[0:1], exec
	v_add_u32_e32 v0, s24, v2
	s_brev_b32 s2, -2
.LBB7_151:                              ; =>This Inner Loop Header: Depth=1
	s_ff1_i32_b64 s3, s[0:1]
	v_readlane_b32 s6, v0, s3
	s_lshl_b64 s[4:5], 1, s3
	s_min_i32 s2, s2, s6
	s_andn2_b64 s[0:1], s[0:1], s[4:5]
	s_cmp_lg_u64 s[0:1], 0
	s_cbranch_scc1 .LBB7_151
; %bb.152:
	v_mbcnt_lo_u32_b32 v0, exec_lo, 0
	v_mbcnt_hi_u32_b32 v0, exec_hi, v0
	v_cmp_eq_u32_e32 vcc, 0, v0
	s_and_saveexec_b64 s[0:1], vcc
	s_xor_b64 s[0:1], exec, s[0:1]
	s_cbranch_execz .LBB7_154
; %bb.153:
	v_mov_b32_e32 v0, 0
	v_mov_b32_e32 v1, s2
	global_atomic_smin v0, v1, s[18:19]
.LBB7_154:
	s_endpgm
	.section	.rodata,"a",@progbits
	.p2align	6, 0x0
	.amdhsa_kernel _ZN9rocsparseL15bsrilu0_generalILj128ELj64ELb1EdEEv20rocsparse_direction_iPKiS3_PT2_S3_iPiS3_S6_21rocsparse_index_base_imNS_24const_host_device_scalarIfEENS8_IdEENS8_IS4_EEb
		.amdhsa_group_segment_fixed_size 0
		.amdhsa_private_segment_fixed_size 0
		.amdhsa_kernarg_size 116
		.amdhsa_user_sgpr_count 6
		.amdhsa_user_sgpr_private_segment_buffer 1
		.amdhsa_user_sgpr_dispatch_ptr 0
		.amdhsa_user_sgpr_queue_ptr 0
		.amdhsa_user_sgpr_kernarg_segment_ptr 1
		.amdhsa_user_sgpr_dispatch_id 0
		.amdhsa_user_sgpr_flat_scratch_init 0
		.amdhsa_user_sgpr_kernarg_preload_length 0
		.amdhsa_user_sgpr_kernarg_preload_offset 0
		.amdhsa_user_sgpr_private_segment_size 0
		.amdhsa_uses_dynamic_stack 0
		.amdhsa_system_sgpr_private_segment_wavefront_offset 0
		.amdhsa_system_sgpr_workgroup_id_x 1
		.amdhsa_system_sgpr_workgroup_id_y 0
		.amdhsa_system_sgpr_workgroup_id_z 0
		.amdhsa_system_sgpr_workgroup_info 0
		.amdhsa_system_vgpr_workitem_id 0
		.amdhsa_next_free_vgpr 44
		.amdhsa_next_free_sgpr 65
		.amdhsa_accum_offset 44
		.amdhsa_reserve_vcc 1
		.amdhsa_reserve_flat_scratch 0
		.amdhsa_float_round_mode_32 0
		.amdhsa_float_round_mode_16_64 0
		.amdhsa_float_denorm_mode_32 3
		.amdhsa_float_denorm_mode_16_64 3
		.amdhsa_dx10_clamp 1
		.amdhsa_ieee_mode 1
		.amdhsa_fp16_overflow 0
		.amdhsa_tg_split 0
		.amdhsa_exception_fp_ieee_invalid_op 0
		.amdhsa_exception_fp_denorm_src 0
		.amdhsa_exception_fp_ieee_div_zero 0
		.amdhsa_exception_fp_ieee_overflow 0
		.amdhsa_exception_fp_ieee_underflow 0
		.amdhsa_exception_fp_ieee_inexact 0
		.amdhsa_exception_int_div_zero 0
	.end_amdhsa_kernel
	.section	.text._ZN9rocsparseL15bsrilu0_generalILj128ELj64ELb1EdEEv20rocsparse_direction_iPKiS3_PT2_S3_iPiS3_S6_21rocsparse_index_base_imNS_24const_host_device_scalarIfEENS8_IdEENS8_IS4_EEb,"axG",@progbits,_ZN9rocsparseL15bsrilu0_generalILj128ELj64ELb1EdEEv20rocsparse_direction_iPKiS3_PT2_S3_iPiS3_S6_21rocsparse_index_base_imNS_24const_host_device_scalarIfEENS8_IdEENS8_IS4_EEb,comdat
.Lfunc_end7:
	.size	_ZN9rocsparseL15bsrilu0_generalILj128ELj64ELb1EdEEv20rocsparse_direction_iPKiS3_PT2_S3_iPiS3_S6_21rocsparse_index_base_imNS_24const_host_device_scalarIfEENS8_IdEENS8_IS4_EEb, .Lfunc_end7-_ZN9rocsparseL15bsrilu0_generalILj128ELj64ELb1EdEEv20rocsparse_direction_iPKiS3_PT2_S3_iPiS3_S6_21rocsparse_index_base_imNS_24const_host_device_scalarIfEENS8_IdEENS8_IS4_EEb
                                        ; -- End function
	.section	.AMDGPU.csdata,"",@progbits
; Kernel info:
; codeLenInByte = 3924
; NumSgprs: 69
; NumVgprs: 44
; NumAgprs: 0
; TotalNumVgprs: 44
; ScratchSize: 0
; MemoryBound: 0
; FloatMode: 240
; IeeeMode: 1
; LDSByteSize: 0 bytes/workgroup (compile time only)
; SGPRBlocks: 8
; VGPRBlocks: 5
; NumSGPRsForWavesPerEU: 69
; NumVGPRsForWavesPerEU: 44
; AccumOffset: 44
; Occupancy: 8
; WaveLimiterHint : 1
; COMPUTE_PGM_RSRC2:SCRATCH_EN: 0
; COMPUTE_PGM_RSRC2:USER_SGPR: 6
; COMPUTE_PGM_RSRC2:TRAP_HANDLER: 0
; COMPUTE_PGM_RSRC2:TGID_X_EN: 1
; COMPUTE_PGM_RSRC2:TGID_Y_EN: 0
; COMPUTE_PGM_RSRC2:TGID_Z_EN: 0
; COMPUTE_PGM_RSRC2:TIDIG_COMP_CNT: 0
; COMPUTE_PGM_RSRC3_GFX90A:ACCUM_OFFSET: 10
; COMPUTE_PGM_RSRC3_GFX90A:TG_SPLIT: 0
	.section	.text._ZN9rocsparseL15bsrilu0_generalILj128ELj32ELb0EdEEv20rocsparse_direction_iPKiS3_PT2_S3_iPiS3_S6_21rocsparse_index_base_imNS_24const_host_device_scalarIfEENS8_IdEENS8_IS4_EEb,"axG",@progbits,_ZN9rocsparseL15bsrilu0_generalILj128ELj32ELb0EdEEv20rocsparse_direction_iPKiS3_PT2_S3_iPiS3_S6_21rocsparse_index_base_imNS_24const_host_device_scalarIfEENS8_IdEENS8_IS4_EEb,comdat
	.globl	_ZN9rocsparseL15bsrilu0_generalILj128ELj32ELb0EdEEv20rocsparse_direction_iPKiS3_PT2_S3_iPiS3_S6_21rocsparse_index_base_imNS_24const_host_device_scalarIfEENS8_IdEENS8_IS4_EEb ; -- Begin function _ZN9rocsparseL15bsrilu0_generalILj128ELj32ELb0EdEEv20rocsparse_direction_iPKiS3_PT2_S3_iPiS3_S6_21rocsparse_index_base_imNS_24const_host_device_scalarIfEENS8_IdEENS8_IS4_EEb
	.p2align	8
	.type	_ZN9rocsparseL15bsrilu0_generalILj128ELj32ELb0EdEEv20rocsparse_direction_iPKiS3_PT2_S3_iPiS3_S6_21rocsparse_index_base_imNS_24const_host_device_scalarIfEENS8_IdEENS8_IS4_EEb,@function
_ZN9rocsparseL15bsrilu0_generalILj128ELj32ELb0EdEEv20rocsparse_direction_iPKiS3_PT2_S3_iPiS3_S6_21rocsparse_index_base_imNS_24const_host_device_scalarIfEENS8_IdEENS8_IS4_EEb: ; @_ZN9rocsparseL15bsrilu0_generalILj128ELj32ELb0EdEEv20rocsparse_direction_iPKiS3_PT2_S3_iPiS3_S6_21rocsparse_index_base_imNS_24const_host_device_scalarIfEENS8_IdEENS8_IS4_EEb
; %bb.0:
	s_load_dword s0, s[4:5], 0x70
	s_load_dwordx2 s[28:29], s[4:5], 0x48
	s_load_dwordx8 s[20:27], s[4:5], 0x50
	s_waitcnt lgkmcnt(0)
	s_bitcmp1_b32 s0, 0
	s_cselect_b64 s[0:1], -1, 0
	s_cmp_lg_u32 s29, 0
	s_cselect_b64 s[34:35], -1, 0
	s_cmp_eq_u32 s29, 0
	s_cselect_b64 s[2:3], -1, 0
	s_and_b64 s[8:9], s[2:3], exec
	s_cselect_b32 s10, 0, s24
	s_cselect_b32 s11, 0, s25
	s_or_b64 s[0:1], s[2:3], s[0:1]
	s_xor_b64 s[8:9], s[0:1], -1
	s_and_b64 vcc, exec, s[0:1]
	s_cbranch_vccnz .LBB8_2
; %bb.1:
	s_load_dword s0, s[22:23], 0x0
	s_mov_b64 s[10:11], s[24:25]
	s_waitcnt lgkmcnt(0)
	v_mov_b32_e32 v32, s0
	s_branch .LBB8_3
.LBB8_2:
	v_mov_b32_e32 v1, s22
	v_cndmask_b32_e64 v32, v1, 0, s[2:3]
.LBB8_3:
	v_cndmask_b32_e64 v1, 0, 1, s[8:9]
	v_cmp_ne_u32_e64 s[0:1], 1, v1
	s_andn2_b64 vcc, exec, s[8:9]
	v_pk_mov_b32 v[10:11], s[10:11], s[10:11] op_sel:[0,1]
	s_cbranch_vccnz .LBB8_5
; %bb.4:
	v_pk_mov_b32 v[2:3], s[24:25], s[24:25] op_sel:[0,1]
	flat_load_dwordx2 v[10:11], v[2:3]
.LBB8_5:
	s_and_b64 s[2:3], s[2:3], exec
	s_cselect_b32 s3, 0, s27
	s_cselect_b32 s2, 0, s26
	s_and_b64 vcc, exec, s[0:1]
	v_pk_mov_b32 v[6:7], s[2:3], s[2:3] op_sel:[0,1]
	s_cbranch_vccnz .LBB8_7
; %bb.6:
	v_pk_mov_b32 v[2:3], s[26:27], s[26:27] op_sel:[0,1]
	flat_load_dwordx2 v[6:7], v[2:3]
.LBB8_7:
	s_load_dwordx2 s[30:31], s[4:5], 0x0
	s_lshl_b32 s0, s6, 2
	v_lshrrev_b32_e32 v1, 5, v0
	s_and_b32 s0, s0, 0x7fffffc
	v_or_b32_e32 v1, s0, v1
	s_waitcnt lgkmcnt(0)
	v_cmp_gt_i32_e32 vcc, s31, v1
	s_and_saveexec_b64 s[0:1], vcc
	s_cbranch_execz .LBB8_152
; %bb.8:
	s_load_dwordx4 s[24:27], s[4:5], 0x30
	s_load_dwordx2 s[22:23], s[4:5], 0x40
	v_lshlrev_b32_e32 v1, 2, v1
	s_load_dwordx8 s[12:19], s[4:5], 0x8
	v_and_b32_e32 v0, 31, v0
	s_waitcnt lgkmcnt(0)
	global_load_dword v2, v1, s[26:27]
	s_mov_b64 s[0:1], -1
	v_mov_b32_e32 v1, s19
	s_waitcnt vmcnt(0)
	v_ashrrev_i32_e32 v3, 31, v2
	v_lshlrev_b64 v[4:5], 2, v[2:3]
	v_add_co_u32_e32 v8, vcc, s18, v4
	v_addc_co_u32_e32 v9, vcc, v1, v5, vcc
	global_load_dword v8, v[8:9], off
	s_waitcnt vmcnt(0)
	v_cmp_ne_u32_e32 vcc, -1, v8
	s_and_saveexec_b64 s[26:27], vcc
	s_cbranch_execz .LBB8_146
; %bb.9:
	v_mov_b32_e32 v1, s13
	v_add_co_u32_e32 v12, vcc, s12, v4
	v_addc_co_u32_e32 v13, vcc, v1, v5, vcc
	global_load_dwordx2 v[12:13], v[12:13], off
	s_load_dword s29, s[4:5], 0x28
	s_mov_b64 s[6:7], 0
	s_waitcnt vmcnt(0)
	v_subrev_u32_e32 v12, s28, v12
	v_subrev_u32_e32 v1, s28, v13
	v_cmp_lt_i32_e32 vcc, v12, v8
	s_and_saveexec_b64 s[36:37], vcc
	s_cbranch_execz .LBB8_81
; %bb.10:
	s_waitcnt lgkmcnt(0)
	s_cmp_gt_i32 s29, 0
	s_cselect_b64 s[6:7], -1, 0
	s_cmp_lg_u32 s30, 0
	s_cselect_b64 s[38:39], -1, 0
	v_add_u32_e32 v14, v12, v0
	s_add_i32 s31, s31, 1
	v_ashrrev_i32_e32 v15, 31, v14
	s_add_u32 s33, s12, 4
	v_lshlrev_b64 v[16:17], 2, v[14:15]
	s_addc_u32 s60, s13, 0
	v_cndmask_b32_e64 v13, 0, 1, s[6:7]
	v_mov_b32_e32 v3, s15
	v_add_co_u32_e32 v16, vcc, s14, v16
	s_add_u32 s61, s14, 0x80
	v_mad_u64_u32 v[18:19], s[8:9], s29, v12, v[0:1]
	v_cmp_ne_u32_e64 s[6:7], 1, v13
	v_mbcnt_lo_u32_b32 v13, -1, 0
	v_cmp_gt_i32_e64 s[0:1], s29, v0
	v_cmp_le_i32_e64 s[2:3], s29, v0
	v_cmp_lt_i32_e64 s[4:5], v14, v1
	v_addc_co_u32_e32 v17, vcc, v3, v17, vcc
	s_addc_u32 s62, s15, 0
	v_mul_lo_u32 v9, s29, v18
	s_mul_i32 s63, s29, s29
	s_lshl_b32 s64, s29, 5
	s_mov_b64 s[44:45], 0
	s_mov_b64 s[12:13], 0
	v_mov_b32_e32 v15, s19
	v_mbcnt_hi_u32_b32 v33, -1, v13
                                        ; implicit-def: $sgpr40_sgpr41
                                        ; implicit-def: $sgpr42_sgpr43
	s_branch .LBB8_13
.LBB8_11:                               ;   in Loop: Header=BB8_13 Depth=1
	s_or_b64 exec, exec, s[10:11]
	s_andn2_b64 s[10:11], s[42:43], exec
	s_and_b64 s[42:43], s[44:45], exec
	s_or_b64 s[42:43], s[10:11], s[42:43]
.LBB8_12:                               ;   in Loop: Header=BB8_13 Depth=1
	s_or_b64 exec, exec, s[46:47]
	v_add_u32_e32 v12, 1, v12
	v_cmp_ge_i32_e32 vcc, v12, v8
	s_xor_b64 s[8:9], s[8:9], -1
	s_or_b64 s[8:9], s[8:9], vcc
	s_and_b64 s[8:9], exec, s[8:9]
	s_or_b64 s[12:13], s[8:9], s[12:13]
	s_andn2_b64 s[8:9], s[40:41], exec
	s_and_b64 s[10:11], s[42:43], exec
	v_add_u32_e32 v9, s63, v9
	s_or_b64 s[40:41], s[8:9], s[10:11]
	s_mov_b64 s[44:45], s[42:43]
	s_andn2_b64 exec, exec, s[12:13]
	s_cbranch_execz .LBB8_80
.LBB8_13:                               ; =>This Loop Header: Depth=1
                                        ;     Child Loop BB8_16 Depth 2
                                        ;     Child Loop BB8_21 Depth 2
                                        ;       Child Loop BB8_26 Depth 3
                                        ;         Child Loop BB8_36 Depth 4
                                        ;     Child Loop BB8_54 Depth 2
                                        ;       Child Loop BB8_59 Depth 3
                                        ;       Child Loop BB8_66 Depth 3
                                        ;         Child Loop BB8_69 Depth 4
                                        ;           Child Loop BB8_71 Depth 5
	v_ashrrev_i32_e32 v13, 31, v12
	v_lshlrev_b64 v[18:19], 2, v[12:13]
	v_add_co_u32_e32 v18, vcc, s14, v18
	v_addc_co_u32_e32 v19, vcc, v3, v19, vcc
	global_load_dword v13, v[18:19], off
	s_or_b64 s[42:43], s[42:43], exec
	s_waitcnt vmcnt(0)
	v_subrev_u32_e32 v18, s28, v13
	v_ashrrev_i32_e32 v19, 31, v18
	v_lshlrev_b64 v[18:19], 2, v[18:19]
	s_waitcnt lgkmcnt(0)
	v_add_co_u32_e32 v20, vcc, s18, v18
	v_addc_co_u32_e32 v21, vcc, v15, v19, vcc
	global_load_dword v23, v[20:21], off
	s_waitcnt vmcnt(0)
	v_cmp_ne_u32_e64 s[8:9], -1, v23
	s_and_saveexec_b64 s[46:47], s[8:9]
	s_cbranch_execz .LBB8_12
; %bb.14:                               ;   in Loop: Header=BB8_13 Depth=1
	v_mov_b32_e32 v13, s60
	v_add_co_u32_e32 v20, vcc, s33, v18
	v_addc_co_u32_e32 v21, vcc, v13, v19, vcc
	v_mov_b32_e32 v13, s25
	v_add_co_u32_e32 v18, vcc, s24, v18
	v_addc_co_u32_e32 v19, vcc, v13, v19, vcc
	global_load_dword v34, v[20:21], off
	global_load_dword v13, v[18:19], off glc
	s_waitcnt vmcnt(0)
	v_cmp_eq_u32_e32 vcc, 0, v13
	s_and_saveexec_b64 s[10:11], vcc
	s_cbranch_execz .LBB8_17
; %bb.15:                               ;   in Loop: Header=BB8_13 Depth=1
	s_mov_b64 s[48:49], 0
.LBB8_16:                               ;   Parent Loop BB8_13 Depth=1
                                        ; =>  This Inner Loop Header: Depth=2
	global_load_dword v13, v[18:19], off glc
	s_waitcnt vmcnt(0)
	v_cmp_ne_u32_e32 vcc, 0, v13
	s_or_b64 s[48:49], vcc, s[48:49]
	s_andn2_b64 exec, exec, s[48:49]
	s_cbranch_execnz .LBB8_16
.LBB8_17:                               ;   in Loop: Header=BB8_13 Depth=1
	s_or_b64 exec, exec, s[10:11]
	s_and_b64 vcc, exec, s[6:7]
	v_mul_lo_u32 v13, v12, s29
	buffer_wbinvl1_vol
	s_cbranch_vccnz .LBB8_50
; %bb.18:                               ;   in Loop: Header=BB8_13 Depth=1
	v_mul_lo_u32 v19, v23, s29
	s_mov_b64 s[48:49], 0
	v_mov_b32_e32 v18, 0
	s_branch .LBB8_21
.LBB8_19:                               ;   in Loop: Header=BB8_21 Depth=2
	s_or_b64 exec, exec, s[52:53]
	v_mov_b32_e32 v18, v35
.LBB8_20:                               ;   in Loop: Header=BB8_21 Depth=2
	s_or_b64 exec, exec, s[50:51]
	v_cmp_eq_u32_e32 vcc, s29, v18
	s_or_b64 s[48:49], vcc, s[48:49]
	s_andn2_b64 exec, exec, s[48:49]
	s_cbranch_execz .LBB8_49
.LBB8_21:                               ;   Parent Loop BB8_13 Depth=1
                                        ; =>  This Loop Header: Depth=2
                                        ;       Child Loop BB8_26 Depth 3
                                        ;         Child Loop BB8_36 Depth 4
	v_add_u32_e32 v35, 1, v18
	s_and_saveexec_b64 s[10:11], s[2:3]
	s_xor_b64 s[10:11], exec, s[10:11]
; %bb.22:                               ;   in Loop: Header=BB8_21 Depth=2
	v_add_u32_e32 v18, 1, v18
                                        ; implicit-def: $vgpr35
; %bb.23:                               ;   in Loop: Header=BB8_21 Depth=2
	s_andn2_saveexec_b64 s[50:51], s[10:11]
	s_cbranch_execz .LBB8_20
; %bb.24:                               ;   in Loop: Header=BB8_21 Depth=2
	v_add_u32_e32 v20, v18, v19
	v_mul_lo_u32 v36, v20, s29
	v_add_u32_e32 v20, v36, v18
	v_ashrrev_i32_e32 v21, 31, v20
	v_lshlrev_b64 v[20:21], 3, v[20:21]
	v_mov_b32_e32 v22, s17
	v_add_co_u32_e32 v20, vcc, s16, v20
	v_addc_co_u32_e32 v21, vcc, v22, v21, vcc
	global_load_dwordx2 v[20:21], v[20:21], off
	v_add_u32_e32 v22, v18, v13
	v_mul_lo_u32 v37, v22, s29
	v_cmp_gt_i32_e64 s[10:11], s29, v35
	s_mov_b64 s[52:53], 0
	v_mov_b32_e32 v38, v9
	v_mov_b32_e32 v22, v0
	s_branch .LBB8_26
.LBB8_25:                               ;   in Loop: Header=BB8_26 Depth=3
	s_or_b64 exec, exec, s[54:55]
	v_add_u32_e32 v22, 32, v22
	v_cmp_le_i32_e32 vcc, s29, v22
	s_or_b64 s[52:53], vcc, s[52:53]
	v_add_u32_e32 v38, s64, v38
	s_andn2_b64 exec, exec, s[52:53]
	s_cbranch_execz .LBB8_19
.LBB8_26:                               ;   Parent Loop BB8_13 Depth=1
                                        ;     Parent Loop BB8_21 Depth=2
                                        ; =>    This Loop Header: Depth=3
                                        ;         Child Loop BB8_36 Depth 4
	s_and_b64 vcc, exec, s[38:39]
	v_add_u32_e32 v26, v22, v37
	s_cbranch_vccz .LBB8_47
; %bb.27:                               ;   in Loop: Header=BB8_26 Depth=3
	v_add_u32_e32 v24, v22, v37
	v_add_u32_e32 v27, v22, v13
	s_cbranch_execnz .LBB8_29
.LBB8_28:                               ;   in Loop: Header=BB8_26 Depth=3
	v_mad_u64_u32 v[24:25], s[54:55], v27, s29, v[18:19]
.LBB8_29:                               ;   in Loop: Header=BB8_26 Depth=3
	v_ashrrev_i32_e32 v25, 31, v24
	v_lshlrev_b64 v[24:25], 3, v[24:25]
	v_mov_b32_e32 v28, s17
	v_add_co_u32_e32 v24, vcc, s16, v24
	v_addc_co_u32_e32 v25, vcc, v28, v25, vcc
	global_load_dwordx2 v[24:25], v[24:25], off
	s_and_b64 vcc, exec, s[38:39]
	s_cbranch_vccz .LBB8_48
; %bb.30:                               ;   in Loop: Header=BB8_26 Depth=3
	s_cbranch_execnz .LBB8_32
.LBB8_31:                               ;   in Loop: Header=BB8_26 Depth=3
	v_mad_u64_u32 v[26:27], s[54:55], v27, s29, v[18:19]
.LBB8_32:                               ;   in Loop: Header=BB8_26 Depth=3
	s_waitcnt vmcnt(0)
	v_div_scale_f64 v[28:29], s[54:55], v[20:21], v[20:21], v[24:25]
	v_rcp_f64_e32 v[30:31], v[28:29]
	v_div_scale_f64 v[40:41], vcc, v[24:25], v[20:21], v[24:25]
	v_ashrrev_i32_e32 v27, 31, v26
	v_fma_f64 v[42:43], -v[28:29], v[30:31], 1.0
	v_fmac_f64_e32 v[30:31], v[30:31], v[42:43]
	v_fma_f64 v[42:43], -v[28:29], v[30:31], 1.0
	v_fmac_f64_e32 v[30:31], v[30:31], v[42:43]
	v_mul_f64 v[42:43], v[40:41], v[30:31]
	v_fma_f64 v[28:29], -v[28:29], v[42:43], v[40:41]
	v_div_fmas_f64 v[28:29], v[28:29], v[30:31], v[42:43]
	v_lshlrev_b64 v[26:27], 3, v[26:27]
	v_div_fixup_f64 v[24:25], v[28:29], v[20:21], v[24:25]
	v_mov_b32_e32 v28, s17
	v_add_co_u32_e32 v26, vcc, s16, v26
	v_addc_co_u32_e32 v27, vcc, v28, v27, vcc
	global_store_dwordx2 v[26:27], v[24:25], off
	s_and_saveexec_b64 s[54:55], s[10:11]
	s_cbranch_execz .LBB8_25
; %bb.33:                               ;   in Loop: Header=BB8_26 Depth=3
	s_mov_b64 s[56:57], 0
	v_mov_b32_e32 v39, v35
	s_branch .LBB8_36
.LBB8_34:                               ;   in Loop: Header=BB8_36 Depth=4
	v_mov_b32_e32 v30, v40
.LBB8_35:                               ;   in Loop: Header=BB8_36 Depth=4
	v_ashrrev_i32_e32 v31, 31, v30
	s_waitcnt vmcnt(0)
	v_fma_f64 v[26:27], -v[24:25], v[26:27], v[28:29]
	v_lshlrev_b64 v[28:29], 3, v[30:31]
	v_mov_b32_e32 v30, s17
	v_add_co_u32_e32 v28, vcc, s16, v28
	v_addc_co_u32_e32 v29, vcc, v30, v29, vcc
	v_add_u32_e32 v39, 1, v39
	v_cmp_le_i32_e32 vcc, s29, v39
	s_or_b64 s[56:57], vcc, s[56:57]
	global_store_dwordx2 v[28:29], v[26:27], off
	s_andn2_b64 exec, exec, s[56:57]
	s_cbranch_execz .LBB8_25
.LBB8_36:                               ;   Parent Loop BB8_13 Depth=1
                                        ;     Parent Loop BB8_21 Depth=2
                                        ;       Parent Loop BB8_26 Depth=3
                                        ; =>      This Inner Loop Header: Depth=4
	s_and_b64 vcc, exec, s[38:39]
	s_cbranch_vccz .LBB8_44
; %bb.37:                               ;   in Loop: Header=BB8_36 Depth=4
	v_add_u32_e32 v26, v39, v19
	v_mad_u64_u32 v[26:27], s[58:59], v26, s29, v[18:19]
	s_cbranch_execnz .LBB8_39
.LBB8_38:                               ;   in Loop: Header=BB8_36 Depth=4
	v_add_u32_e32 v26, v36, v39
.LBB8_39:                               ;   in Loop: Header=BB8_36 Depth=4
	v_ashrrev_i32_e32 v27, 31, v26
	v_lshlrev_b64 v[26:27], 3, v[26:27]
	v_mov_b32_e32 v28, s17
	v_add_co_u32_e32 v26, vcc, s16, v26
	v_addc_co_u32_e32 v27, vcc, v28, v27, vcc
	global_load_dwordx2 v[26:27], v[26:27], off
	s_and_b64 vcc, exec, s[38:39]
	v_add_u32_e32 v30, v39, v13
	s_cbranch_vccz .LBB8_45
; %bb.40:                               ;   in Loop: Header=BB8_36 Depth=4
	v_mad_u64_u32 v[28:29], s[58:59], v30, s29, v[22:23]
	v_add_u32_e32 v40, v38, v39
	s_cbranch_execnz .LBB8_42
.LBB8_41:                               ;   in Loop: Header=BB8_36 Depth=4
	v_add_u32_e32 v28, v38, v39
.LBB8_42:                               ;   in Loop: Header=BB8_36 Depth=4
	v_ashrrev_i32_e32 v29, 31, v28
	v_lshlrev_b64 v[28:29], 3, v[28:29]
	v_mov_b32_e32 v31, s17
	v_add_co_u32_e32 v28, vcc, s16, v28
	v_addc_co_u32_e32 v29, vcc, v31, v29, vcc
	global_load_dwordx2 v[28:29], v[28:29], off
	s_and_b64 vcc, exec, s[38:39]
	s_cbranch_vccz .LBB8_46
; %bb.43:                               ;   in Loop: Header=BB8_36 Depth=4
	v_mad_u64_u32 v[30:31], s[58:59], v30, s29, v[22:23]
	s_cbranch_execnz .LBB8_35
	s_branch .LBB8_34
.LBB8_44:                               ;   in Loop: Header=BB8_36 Depth=4
                                        ; implicit-def: $vgpr26
	s_branch .LBB8_38
.LBB8_45:                               ;   in Loop: Header=BB8_36 Depth=4
                                        ; implicit-def: $vgpr28
	v_add_u32_e32 v40, v38, v39
	s_branch .LBB8_41
.LBB8_46:                               ;   in Loop: Header=BB8_36 Depth=4
                                        ; implicit-def: $vgpr30
	s_branch .LBB8_34
.LBB8_47:                               ;   in Loop: Header=BB8_26 Depth=3
                                        ; implicit-def: $vgpr24
	v_add_u32_e32 v27, v22, v13
	s_branch .LBB8_28
.LBB8_48:                               ;   in Loop: Header=BB8_26 Depth=3
                                        ; implicit-def: $vgpr26
	s_branch .LBB8_31
.LBB8_49:                               ;   in Loop: Header=BB8_13 Depth=1
	s_or_b64 exec, exec, s[48:49]
.LBB8_50:                               ;   in Loop: Header=BB8_13 Depth=1
	v_subrev_u32_e32 v28, s28, v34
	v_add_u32_e32 v18, 1, v23
	v_cmp_lt_i32_e32 vcc, v18, v28
	s_and_saveexec_b64 s[10:11], vcc
	s_cbranch_execz .LBB8_11
; %bb.51:                               ;   in Loop: Header=BB8_13 Depth=1
	v_mul_lo_u32 v29, s63, v18
	s_mov_b64 s[48:49], 0
	s_branch .LBB8_54
.LBB8_52:                               ;   in Loop: Header=BB8_54 Depth=2
	s_or_b64 exec, exec, s[50:51]
.LBB8_53:                               ;   in Loop: Header=BB8_54 Depth=2
	v_add_u32_e32 v18, 1, v18
	v_cmp_ge_i32_e32 vcc, v18, v28
	s_or_b64 s[48:49], vcc, s[48:49]
	v_add_u32_e32 v29, s63, v29
	s_andn2_b64 exec, exec, s[48:49]
	s_cbranch_execz .LBB8_11
.LBB8_54:                               ;   Parent Loop BB8_13 Depth=1
                                        ; =>  This Loop Header: Depth=2
                                        ;       Child Loop BB8_59 Depth 3
                                        ;       Child Loop BB8_66 Depth 3
                                        ;         Child Loop BB8_69 Depth 4
                                        ;           Child Loop BB8_71 Depth 5
	v_ashrrev_i32_e32 v19, 31, v18
	s_waitcnt lgkmcnt(0)
	v_lshlrev_b64 v[20:21], 2, v[18:19]
	v_mov_b32_e32 v19, s15
	v_add_co_u32_e32 v20, vcc, s14, v20
	v_addc_co_u32_e32 v21, vcc, v19, v21, vcc
	global_load_dword v19, v[20:21], off
	v_mov_b32_e32 v21, s31
	s_and_saveexec_b64 s[50:51], s[4:5]
	s_cbranch_execz .LBB8_56
; %bb.55:                               ;   in Loop: Header=BB8_54 Depth=2
	global_load_dword v20, v[16:17], off
	s_waitcnt vmcnt(0)
	v_subrev_u32_e32 v21, s28, v20
.LBB8_56:                               ;   in Loop: Header=BB8_54 Depth=2
	s_or_b64 exec, exec, s[50:51]
	s_waitcnt vmcnt(0)
	v_subrev_u32_e32 v19, s28, v19
	v_cmp_lt_i32_e32 vcc, v21, v19
	v_mov_b32_e32 v22, v14
	s_and_saveexec_b64 s[50:51], vcc
	s_cbranch_execz .LBB8_62
; %bb.57:                               ;   in Loop: Header=BB8_54 Depth=2
	s_mov_b64 s[52:53], 0
	v_mov_b32_e32 v20, v14
	s_branch .LBB8_59
.LBB8_58:                               ;   in Loop: Header=BB8_59 Depth=3
	s_or_b64 exec, exec, s[54:55]
	v_cmp_ge_i32_e32 vcc, v21, v19
	s_or_b64 s[52:53], vcc, s[52:53]
	v_mov_b32_e32 v20, v22
	s_andn2_b64 exec, exec, s[52:53]
	s_cbranch_execz .LBB8_61
.LBB8_59:                               ;   Parent Loop BB8_13 Depth=1
                                        ;     Parent Loop BB8_54 Depth=2
                                        ; =>    This Inner Loop Header: Depth=3
	v_add_u32_e32 v22, 32, v20
	v_cmp_lt_i32_e32 vcc, v22, v1
	v_mov_b32_e32 v21, s31
	s_and_saveexec_b64 s[54:55], vcc
	s_cbranch_execz .LBB8_58
; %bb.60:                               ;   in Loop: Header=BB8_59 Depth=3
	v_ashrrev_i32_e32 v21, 31, v20
	v_lshlrev_b64 v[20:21], 2, v[20:21]
	v_mov_b32_e32 v23, s62
	v_add_co_u32_e32 v20, vcc, s61, v20
	v_addc_co_u32_e32 v21, vcc, v23, v21, vcc
	global_load_dword v20, v[20:21], off
	s_waitcnt vmcnt(0)
	v_subrev_u32_e32 v21, s28, v20
	s_branch .LBB8_58
.LBB8_61:                               ;   in Loop: Header=BB8_54 Depth=2
	s_or_b64 exec, exec, s[52:53]
.LBB8_62:                               ;   in Loop: Header=BB8_54 Depth=2
	s_or_b64 exec, exec, s[50:51]
	v_cmp_eq_u32_e32 vcc, v21, v19
	s_cbranch_vccz .LBB8_53
; %bb.63:                               ;   in Loop: Header=BB8_54 Depth=2
	s_ff1_i32_b64 s19, vcc
	v_and_or_b32 v19, v33, 64, s19
	v_lshlrev_b32_e32 v19, 2, v19
	ds_bpermute_b32 v20, v19, v22
	s_and_saveexec_b64 s[50:51], s[0:1]
	s_cbranch_execz .LBB8_52
; %bb.64:                               ;   in Loop: Header=BB8_54 Depth=2
	v_mul_lo_u32 v19, v18, s29
	s_waitcnt lgkmcnt(0)
	v_mul_lo_u32 v21, v20, s29
	s_mov_b64 s[52:53], 0
	v_mov_b32_e32 v30, v9
	v_mov_b32_e32 v20, v0
	s_branch .LBB8_66
.LBB8_65:                               ;   in Loop: Header=BB8_66 Depth=3
	v_add_u32_e32 v20, 32, v20
	v_cmp_le_i32_e32 vcc, s29, v20
	s_or_b64 s[52:53], vcc, s[52:53]
	v_add_u32_e32 v30, s64, v30
	s_andn2_b64 exec, exec, s[52:53]
	s_cbranch_execz .LBB8_52
.LBB8_66:                               ;   Parent Loop BB8_13 Depth=1
                                        ;     Parent Loop BB8_54 Depth=2
                                        ; =>    This Loop Header: Depth=3
                                        ;         Child Loop BB8_69 Depth 4
                                        ;           Child Loop BB8_71 Depth 5
	v_add_u32_e32 v22, v20, v21
	v_mul_lo_u32 v31, v22, s29
	s_mov_b32 s19, 0
	v_mov_b32_e32 v34, v29
	s_branch .LBB8_69
.LBB8_67:                               ;   in Loop: Header=BB8_69 Depth=4
	v_add_u32_e32 v24, s19, v31
.LBB8_68:                               ;   in Loop: Header=BB8_69 Depth=4
	v_ashrrev_i32_e32 v25, 31, v24
	v_lshlrev_b64 v[24:25], 3, v[24:25]
	v_mov_b32_e32 v26, s17
	v_add_co_u32_e32 v24, vcc, s16, v24
	v_addc_co_u32_e32 v25, vcc, v26, v25, vcc
	global_load_dwordx2 v[26:27], v[24:25], off
	s_add_i32 s19, s19, 1
	s_cmp_eq_u32 s19, s29
	v_add_u32_e32 v34, 1, v34
	s_waitcnt vmcnt(0)
	v_add_f64 v[22:23], v[26:27], -v[22:23]
	global_store_dwordx2 v[24:25], v[22:23], off
	s_cbranch_scc1 .LBB8_65
.LBB8_69:                               ;   Parent Loop BB8_13 Depth=1
                                        ;     Parent Loop BB8_54 Depth=2
                                        ;       Parent Loop BB8_66 Depth=3
                                        ; =>      This Loop Header: Depth=4
                                        ;           Child Loop BB8_71 Depth 5
	v_add_u32_e32 v22, s19, v19
	v_mul_lo_u32 v35, v22, s29
	v_pk_mov_b32 v[22:23], 0, 0
	v_mov_b32_e32 v36, v34
	s_mov_b32 s56, 0
	s_branch .LBB8_71
.LBB8_70:                               ;   in Loop: Header=BB8_71 Depth=5
	v_ashrrev_i32_e32 v27, 31, v26
	v_lshlrev_b64 v[26:27], 3, v[26:27]
	v_mov_b32_e32 v37, s17
	v_add_co_u32_e32 v26, vcc, s16, v26
	v_addc_co_u32_e32 v27, vcc, v37, v27, vcc
	global_load_dwordx2 v[26:27], v[26:27], off
	s_add_i32 s56, s56, 1
	s_cmp_eq_u32 s29, s56
	v_add_u32_e32 v36, s29, v36
	s_waitcnt vmcnt(0)
	v_fmac_f64_e32 v[22:23], v[24:25], v[26:27]
	s_cbranch_scc1 .LBB8_77
.LBB8_71:                               ;   Parent Loop BB8_13 Depth=1
                                        ;     Parent Loop BB8_54 Depth=2
                                        ;       Parent Loop BB8_66 Depth=3
                                        ;         Parent Loop BB8_69 Depth=4
                                        ; =>        This Inner Loop Header: Depth=5
	s_and_b64 vcc, exec, s[38:39]
	s_cbranch_vccz .LBB8_76
; %bb.72:                               ;   in Loop: Header=BB8_71 Depth=5
	v_add_u32_e32 v24, s56, v13
	v_mad_u64_u32 v[24:25], s[54:55], v24, s29, v[20:21]
	s_cbranch_execnz .LBB8_74
.LBB8_73:                               ;   in Loop: Header=BB8_71 Depth=5
	v_add_u32_e32 v24, s56, v30
.LBB8_74:                               ;   in Loop: Header=BB8_71 Depth=5
	v_ashrrev_i32_e32 v25, 31, v24
	v_lshlrev_b64 v[24:25], 3, v[24:25]
	v_mov_b32_e32 v26, s17
	v_add_co_u32_e32 v24, vcc, s16, v24
	v_addc_co_u32_e32 v25, vcc, v26, v25, vcc
	global_load_dwordx2 v[24:25], v[24:25], off
	s_andn2_b64 vcc, exec, s[38:39]
	v_mov_b32_e32 v26, v36
	s_cbranch_vccnz .LBB8_70
; %bb.75:                               ;   in Loop: Header=BB8_71 Depth=5
	v_add_u32_e32 v26, s56, v35
	s_branch .LBB8_70
.LBB8_76:                               ;   in Loop: Header=BB8_71 Depth=5
                                        ; implicit-def: $vgpr24
	s_branch .LBB8_73
.LBB8_77:                               ;   in Loop: Header=BB8_69 Depth=4
	s_and_b64 vcc, exec, s[38:39]
	s_cbranch_vccz .LBB8_79
; %bb.78:                               ;   in Loop: Header=BB8_69 Depth=4
	v_add_u32_e32 v24, s19, v21
	v_mad_u64_u32 v[24:25], s[54:55], v24, s29, v[20:21]
	s_cbranch_execnz .LBB8_68
	s_branch .LBB8_67
.LBB8_79:                               ;   in Loop: Header=BB8_69 Depth=4
                                        ; implicit-def: $vgpr24
	s_branch .LBB8_67
.LBB8_80:
	s_or_b64 exec, exec, s[12:13]
	s_and_b64 s[6:7], s[40:41], exec
.LBB8_81:
	s_or_b64 exec, exec, s[36:37]
	v_ashrrev_i32_e32 v9, 31, v8
	v_lshlrev_b64 v[12:13], 2, v[8:9]
	v_mov_b32_e32 v3, s15
	v_add_co_u32_e32 v12, vcc, s14, v12
	v_addc_co_u32_e32 v13, vcc, v3, v13, vcc
	global_load_dword v3, v[12:13], off
	s_waitcnt lgkmcnt(0)
	s_cmp_gt_i32 s29, 0
	s_cselect_b64 s[8:9], -1, 0
	s_waitcnt vmcnt(0)
	v_subrev_u32_e32 v3, s28, v3
	v_cmp_eq_u32_e32 vcc, v3, v2
	s_and_b64 s[0:1], s[8:9], vcc
	s_and_saveexec_b64 s[10:11], s[0:1]
	s_cbranch_execz .LBB8_121
; %bb.82:
	s_cmp_eq_u64 s[20:21], 8
	v_cvt_f64_f32_e32 v[12:13], v32
	s_cselect_b64 vcc, -1, 0
	s_cmp_lg_u32 s30, 0
	v_mul_lo_u32 v3, v8, s29
	v_cndmask_b32_e64 v14, 0, 1, s[34:35]
	v_cndmask_b32_e32 v11, v13, v11, vcc
	v_cndmask_b32_e32 v10, v12, v10, vcc
	s_cselect_b64 s[12:13], -1, 0
	v_cmp_eq_u32_e64 s[0:1], 0, v0
	v_add3_u32 v9, v3, v0, 1
	s_lshl_b32 s31, s29, 5
	s_mov_b64 s[14:15], 0
	v_mov_b32_e32 v12, 0
	v_mov_b32_e32 v13, s17
	v_cmp_ne_u32_e64 s[2:3], 1, v14
	s_mov_b64 s[20:21], s[6:7]
                                        ; implicit-def: $sgpr18_sgpr19
	s_branch .LBB8_84
.LBB8_83:                               ;   in Loop: Header=BB8_84 Depth=1
	s_or_b64 exec, exec, s[4:5]
	v_cmp_eq_u32_e32 vcc, s29, v17
	s_or_b64 s[14:15], vcc, s[14:15]
	s_andn2_b64 s[4:5], s[18:19], exec
	s_and_b64 s[18:19], s[20:21], exec
	s_or_b64 s[18:19], s[4:5], s[18:19]
	v_mov_b32_e32 v12, v17
	s_andn2_b64 exec, exec, s[14:15]
	s_cbranch_execz .LBB8_120
.LBB8_84:                               ; =>This Loop Header: Depth=1
                                        ;     Child Loop BB8_94 Depth 2
                                        ;       Child Loop BB8_104 Depth 3
	v_add_u32_e32 v14, v12, v3
	v_mul_lo_u32 v26, v14, s29
	v_add_u32_e32 v14, v26, v12
	v_ashrrev_i32_e32 v15, 31, v14
	v_lshlrev_b64 v[14:15], 3, v[14:15]
	v_add_co_u32_e32 v18, vcc, s16, v14
	v_addc_co_u32_e32 v19, vcc, v13, v15, vcc
	global_load_dwordx2 v[14:15], v[18:19], off
	s_and_b64 vcc, exec, s[2:3]
	s_cbranch_vccnz .LBB8_89
; %bb.85:                               ;   in Loop: Header=BB8_84 Depth=1
	s_waitcnt vmcnt(0)
	v_xor_b32_e32 v16, 0x80000000, v15
	v_cmp_gt_f64_e32 vcc, 0, v[14:15]
	v_cndmask_b32_e32 v17, v15, v16, vcc
	v_cndmask_b32_e32 v16, v14, v14, vcc
	v_cmp_le_f64_e32 vcc, v[16:17], v[10:11]
	v_cndmask_b32_e32 v17, v15, v7, vcc
	v_cndmask_b32_e32 v16, v14, v6, vcc
	s_and_saveexec_b64 s[4:5], s[0:1]
	s_cbranch_execz .LBB8_87
; %bb.86:                               ;   in Loop: Header=BB8_84 Depth=1
	global_store_dwordx2 v[18:19], v[16:17], off
.LBB8_87:                               ;   in Loop: Header=BB8_84 Depth=1
	s_or_b64 exec, exec, s[4:5]
	s_mov_b64 s[4:5], -1
	s_mov_b64 s[34:35], 0
	s_cbranch_execz .LBB8_90
; %bb.88:                               ;   in Loop: Header=BB8_84 Depth=1
	s_waitcnt vmcnt(0)
	v_pk_mov_b32 v[14:15], v[16:17], v[16:17] op_sel:[0,1]
                                        ; implicit-def: $sgpr38_sgpr39
                                        ; implicit-def: $vgpr17
	s_and_saveexec_b64 s[36:37], s[4:5]
	s_xor_b64 s[36:37], exec, s[36:37]
	s_cbranch_execz .LBB8_118
	s_branch .LBB8_91
.LBB8_89:                               ;   in Loop: Header=BB8_84 Depth=1
	s_mov_b64 s[4:5], 0
                                        ; implicit-def: $vgpr16_vgpr17
	s_mov_b64 s[34:35], 0
.LBB8_90:                               ;   in Loop: Header=BB8_84 Depth=1
	s_waitcnt vmcnt(0)
	v_cmp_neq_f64_e32 vcc, 0, v[14:15]
	s_andn2_b64 s[4:5], s[4:5], exec
	s_and_b64 s[36:37], vcc, exec
	s_mov_b64 s[34:35], -1
	s_or_b64 s[4:5], s[4:5], s[36:37]
                                        ; implicit-def: $sgpr38_sgpr39
                                        ; implicit-def: $vgpr17
	s_and_saveexec_b64 s[36:37], s[4:5]
	s_xor_b64 s[36:37], exec, s[36:37]
	s_cbranch_execz .LBB8_118
.LBB8_91:                               ;   in Loop: Header=BB8_84 Depth=1
	v_add_u32_e32 v17, 1, v12
	v_add_u32_e32 v16, v17, v0
	v_cmp_gt_i32_e32 vcc, s29, v16
	s_and_saveexec_b64 s[38:39], vcc
	s_cbranch_execz .LBB8_117
; %bb.92:                               ;   in Loop: Header=BB8_84 Depth=1
	v_add_u32_e32 v18, v9, v12
	v_cmp_gt_i32_e64 s[4:5], s29, v17
	v_mul_lo_u32 v27, s29, v18
	s_mov_b64 s[40:41], 0
	s_branch .LBB8_94
.LBB8_93:                               ;   in Loop: Header=BB8_94 Depth=2
	s_or_b64 exec, exec, s[42:43]
	v_add_u32_e32 v16, 32, v16
	v_cmp_le_i32_e32 vcc, s29, v16
	s_or_b64 s[40:41], vcc, s[40:41]
	v_add_u32_e32 v27, s31, v27
	s_andn2_b64 exec, exec, s[40:41]
	s_cbranch_execz .LBB8_117
.LBB8_94:                               ;   Parent Loop BB8_84 Depth=1
                                        ; =>  This Loop Header: Depth=2
                                        ;       Child Loop BB8_104 Depth 3
	s_and_b64 vcc, exec, s[12:13]
	v_add_u32_e32 v20, v16, v26
	s_cbranch_vccz .LBB8_115
; %bb.95:                               ;   in Loop: Header=BB8_94 Depth=2
	v_add_u32_e32 v18, v16, v26
	s_cbranch_execnz .LBB8_97
.LBB8_96:                               ;   in Loop: Header=BB8_94 Depth=2
	v_add_u32_e32 v18, v16, v3
	v_mad_u64_u32 v[18:19], s[42:43], v18, s29, v[12:13]
.LBB8_97:                               ;   in Loop: Header=BB8_94 Depth=2
	v_ashrrev_i32_e32 v19, 31, v18
	v_lshlrev_b64 v[18:19], 3, v[18:19]
	v_add_co_u32_e32 v18, vcc, s16, v18
	v_addc_co_u32_e32 v19, vcc, v13, v19, vcc
	global_load_dwordx2 v[18:19], v[18:19], off
	s_and_b64 vcc, exec, s[12:13]
	s_cbranch_vccz .LBB8_116
; %bb.98:                               ;   in Loop: Header=BB8_94 Depth=2
	s_cbranch_execnz .LBB8_100
.LBB8_99:                               ;   in Loop: Header=BB8_94 Depth=2
	v_add_u32_e32 v20, v16, v3
	v_mad_u64_u32 v[20:21], s[42:43], v20, s29, v[12:13]
.LBB8_100:                              ;   in Loop: Header=BB8_94 Depth=2
	s_waitcnt vmcnt(0)
	v_div_scale_f64 v[22:23], s[42:43], v[14:15], v[14:15], v[18:19]
	v_rcp_f64_e32 v[24:25], v[22:23]
	v_div_scale_f64 v[28:29], vcc, v[18:19], v[14:15], v[18:19]
	v_ashrrev_i32_e32 v21, 31, v20
	v_fma_f64 v[30:31], -v[22:23], v[24:25], 1.0
	v_fmac_f64_e32 v[24:25], v[24:25], v[30:31]
	v_fma_f64 v[30:31], -v[22:23], v[24:25], 1.0
	v_fmac_f64_e32 v[24:25], v[24:25], v[30:31]
	v_mul_f64 v[30:31], v[28:29], v[24:25]
	v_fma_f64 v[22:23], -v[22:23], v[30:31], v[28:29]
	v_div_fmas_f64 v[22:23], v[22:23], v[24:25], v[30:31]
	v_lshlrev_b64 v[20:21], 3, v[20:21]
	v_div_fixup_f64 v[18:19], v[22:23], v[14:15], v[18:19]
	v_mov_b32_e32 v22, s17
	v_add_co_u32_e32 v20, vcc, s16, v20
	v_addc_co_u32_e32 v21, vcc, v22, v21, vcc
	global_store_dwordx2 v[20:21], v[18:19], off
	s_and_saveexec_b64 s[42:43], s[4:5]
	s_cbranch_execz .LBB8_93
; %bb.101:                              ;   in Loop: Header=BB8_94 Depth=2
	s_mov_b64 s[44:45], 0
	v_mov_b32_e32 v28, v17
	s_branch .LBB8_104
.LBB8_102:                              ;   in Loop: Header=BB8_104 Depth=3
	v_add_u32_e32 v24, v27, v28
.LBB8_103:                              ;   in Loop: Header=BB8_104 Depth=3
	v_ashrrev_i32_e32 v25, 31, v24
	s_waitcnt vmcnt(0)
	v_fma_f64 v[20:21], -v[18:19], v[20:21], v[22:23]
	v_lshlrev_b64 v[22:23], 3, v[24:25]
	v_mov_b32_e32 v24, s17
	v_add_co_u32_e32 v22, vcc, s16, v22
	v_addc_co_u32_e32 v23, vcc, v24, v23, vcc
	v_add_u32_e32 v28, 1, v28
	v_cmp_le_i32_e32 vcc, s29, v28
	s_or_b64 s[44:45], vcc, s[44:45]
	global_store_dwordx2 v[22:23], v[20:21], off
	s_andn2_b64 exec, exec, s[44:45]
	s_cbranch_execz .LBB8_93
.LBB8_104:                              ;   Parent Loop BB8_84 Depth=1
                                        ;     Parent Loop BB8_94 Depth=2
                                        ; =>    This Inner Loop Header: Depth=3
	s_and_b64 vcc, exec, s[12:13]
	v_add_u32_e32 v24, v28, v3
	s_cbranch_vccz .LBB8_112
; %bb.105:                              ;   in Loop: Header=BB8_104 Depth=3
	v_mad_u64_u32 v[20:21], s[46:47], v24, s29, v[12:13]
	s_cbranch_execnz .LBB8_107
.LBB8_106:                              ;   in Loop: Header=BB8_104 Depth=3
	v_add_u32_e32 v20, v26, v28
.LBB8_107:                              ;   in Loop: Header=BB8_104 Depth=3
	v_ashrrev_i32_e32 v21, 31, v20
	v_lshlrev_b64 v[20:21], 3, v[20:21]
	v_mov_b32_e32 v22, s17
	v_add_co_u32_e32 v20, vcc, s16, v20
	v_addc_co_u32_e32 v21, vcc, v22, v21, vcc
	global_load_dwordx2 v[20:21], v[20:21], off
	s_and_b64 vcc, exec, s[12:13]
	s_cbranch_vccz .LBB8_113
; %bb.108:                              ;   in Loop: Header=BB8_104 Depth=3
	v_mad_u64_u32 v[22:23], s[46:47], v24, s29, v[16:17]
	s_cbranch_execnz .LBB8_110
.LBB8_109:                              ;   in Loop: Header=BB8_104 Depth=3
	v_add_u32_e32 v22, v27, v28
.LBB8_110:                              ;   in Loop: Header=BB8_104 Depth=3
	v_ashrrev_i32_e32 v23, 31, v22
	v_lshlrev_b64 v[22:23], 3, v[22:23]
	v_mov_b32_e32 v25, s17
	v_add_co_u32_e32 v22, vcc, s16, v22
	v_addc_co_u32_e32 v23, vcc, v25, v23, vcc
	global_load_dwordx2 v[22:23], v[22:23], off
	s_and_b64 vcc, exec, s[12:13]
	s_cbranch_vccz .LBB8_114
; %bb.111:                              ;   in Loop: Header=BB8_104 Depth=3
	v_mad_u64_u32 v[24:25], s[46:47], v24, s29, v[16:17]
	s_cbranch_execnz .LBB8_103
	s_branch .LBB8_102
.LBB8_112:                              ;   in Loop: Header=BB8_104 Depth=3
                                        ; implicit-def: $vgpr20
	s_branch .LBB8_106
.LBB8_113:                              ;   in Loop: Header=BB8_104 Depth=3
                                        ; implicit-def: $vgpr22
	s_branch .LBB8_109
.LBB8_114:                              ;   in Loop: Header=BB8_104 Depth=3
                                        ; implicit-def: $vgpr24
	s_branch .LBB8_102
.LBB8_115:                              ;   in Loop: Header=BB8_94 Depth=2
                                        ; implicit-def: $vgpr18
	s_branch .LBB8_96
.LBB8_116:                              ;   in Loop: Header=BB8_94 Depth=2
                                        ; implicit-def: $vgpr20
	s_branch .LBB8_99
.LBB8_117:                              ;   in Loop: Header=BB8_84 Depth=1
	s_or_b64 exec, exec, s[38:39]
	s_and_b64 s[38:39], s[20:21], exec
	s_andn2_b64 s[34:35], s[34:35], exec
.LBB8_118:                              ;   in Loop: Header=BB8_84 Depth=1
	s_or_b64 exec, exec, s[36:37]
	s_andn2_b64 s[4:5], s[20:21], exec
	s_and_b64 s[20:21], s[38:39], exec
	s_or_b64 s[20:21], s[4:5], s[20:21]
	s_and_saveexec_b64 s[4:5], s[34:35]
	s_cbranch_execz .LBB8_83
; %bb.119:                              ;   in Loop: Header=BB8_84 Depth=1
	v_add_u32_e32 v17, 1, v12
	s_or_b64 s[20:21], s[20:21], exec
	s_branch .LBB8_83
.LBB8_120:
	s_or_b64 exec, exec, s[14:15]
	s_andn2_b64 s[0:1], s[6:7], exec
	s_and_b64 s[2:3], s[18:19], exec
	s_or_b64 s[6:7], s[0:1], s[2:3]
.LBB8_121:
	s_or_b64 exec, exec, s[10:11]
	v_add_u32_e32 v3, 1, v8
	v_cmp_lt_i32_e32 vcc, v3, v1
	s_and_saveexec_b64 s[10:11], vcc
	s_cbranch_execz .LBB8_145
; %bb.122:
	v_mul_lo_u32 v14, v8, s29
	v_mul_lo_u32 v6, s29, v14
	s_mul_i32 s31, s29, s29
	v_add_u32_e32 v15, s29, v6
	v_mul_lo_u32 v6, s31, v3
	s_cmp_lg_u32 s30, 0
	v_add3_u32 v16, v6, s29, v0
	v_cndmask_b32_e64 v6, 0, 1, s[8:9]
	v_cmp_gt_i32_e64 s[0:1], s29, v0
	s_cselect_b64 s[12:13], -1, 0
	s_add_i32 s30, s29, 1
	s_mov_b64 s[14:15], 0
	v_cmp_ne_u32_e64 s[2:3], 1, v6
	s_branch .LBB8_124
.LBB8_123:                              ;   in Loop: Header=BB8_124 Depth=1
	v_add_u32_e32 v3, 1, v3
	v_cmp_ge_i32_e32 vcc, v3, v1
	s_or_b64 s[14:15], vcc, s[14:15]
	v_add_u32_e32 v16, s31, v16
	s_andn2_b64 exec, exec, s[14:15]
	s_cbranch_execz .LBB8_145
.LBB8_124:                              ; =>This Loop Header: Depth=1
                                        ;     Child Loop BB8_127 Depth 2
                                        ;       Child Loop BB8_130 Depth 3
                                        ;         Child Loop BB8_134 Depth 4
	s_and_b64 vcc, exec, s[2:3]
	s_cbranch_vccnz .LBB8_123
; %bb.125:                              ;   in Loop: Header=BB8_124 Depth=1
	v_mul_lo_u32 v17, v3, s29
	s_mov_b32 s33, 0
	v_mov_b32_e32 v18, v16
	v_mov_b32_e32 v19, v15
	s_branch .LBB8_127
.LBB8_126:                              ;   in Loop: Header=BB8_127 Depth=2
	s_or_b64 exec, exec, s[8:9]
	v_add_u32_e32 v19, s30, v19
	v_add_u32_e32 v18, s29, v18
	s_cmp_eq_u32 s34, s29
	s_mov_b32 s33, s34
	s_cbranch_scc1 .LBB8_123
.LBB8_127:                              ;   Parent Loop BB8_124 Depth=1
                                        ; =>  This Loop Header: Depth=2
                                        ;       Child Loop BB8_130 Depth 3
                                        ;         Child Loop BB8_134 Depth 4
	s_add_i32 s34, s33, 1
	s_and_saveexec_b64 s[8:9], s[0:1]
	s_cbranch_execz .LBB8_126
; %bb.128:                              ;   in Loop: Header=BB8_127 Depth=2
	s_cmp_lt_i32 s34, s29
	v_add_u32_e32 v6, s33, v14
	v_mul_lo_u32 v20, v6, s29
	v_add_u32_e32 v6, s33, v17
	s_cselect_b64 s[4:5], -1, 0
	v_mul_lo_u32 v21, v6, s29
	v_cndmask_b32_e64 v6, 0, 1, s[4:5]
	s_mov_b64 s[18:19], 0
	v_cmp_ne_u32_e64 s[4:5], 1, v6
	v_mov_b32_e32 v22, v18
	v_mov_b32_e32 v23, v0
	s_branch .LBB8_130
.LBB8_129:                              ;   in Loop: Header=BB8_130 Depth=3
	v_add_u32_e32 v23, 32, v23
	v_cmp_le_i32_e32 vcc, s29, v23
	s_or_b64 s[18:19], vcc, s[18:19]
	v_add_u32_e32 v22, 32, v22
	s_andn2_b64 exec, exec, s[18:19]
	s_cbranch_execz .LBB8_126
.LBB8_130:                              ;   Parent Loop BB8_124 Depth=1
                                        ;     Parent Loop BB8_127 Depth=2
                                        ; =>    This Loop Header: Depth=3
                                        ;         Child Loop BB8_134 Depth 4
	s_and_b64 vcc, exec, s[4:5]
	s_cbranch_vccnz .LBB8_129
; %bb.131:                              ;   in Loop: Header=BB8_130 Depth=3
	v_add_u32_e32 v6, v23, v17
	v_mul_lo_u32 v24, v6, s29
	v_add_u32_e32 v25, s33, v24
	v_add_u32_e32 v26, v23, v21
	s_mov_b32 s35, 0
	s_mov_b32 s36, s34
	s_branch .LBB8_134
.LBB8_132:                              ;   in Loop: Header=BB8_134 Depth=4
	v_mov_b32_e32 v10, v11
.LBB8_133:                              ;   in Loop: Header=BB8_134 Depth=4
	v_ashrrev_i32_e32 v11, 31, v10
	s_waitcnt vmcnt(0)
	v_fma_f64 v[6:7], -v[6:7], v[8:9], v[12:13]
	v_lshlrev_b64 v[8:9], 3, v[10:11]
	v_mov_b32_e32 v10, s17
	v_add_co_u32_e32 v8, vcc, s16, v8
	s_add_i32 s36, s36, 1
	s_add_i32 s35, s35, s29
	v_addc_co_u32_e32 v9, vcc, v10, v9, vcc
	s_cmp_ge_i32 s36, s29
	global_store_dwordx2 v[8:9], v[6:7], off
	s_cbranch_scc1 .LBB8_129
.LBB8_134:                              ;   Parent Loop BB8_124 Depth=1
                                        ;     Parent Loop BB8_127 Depth=2
                                        ;       Parent Loop BB8_130 Depth=3
                                        ; =>      This Inner Loop Header: Depth=4
	s_and_b64 vcc, exec, s[12:13]
	s_cbranch_vccz .LBB8_142
; %bb.135:                              ;   in Loop: Header=BB8_134 Depth=4
	v_add_u32_e32 v6, s36, v20
	v_mov_b32_e32 v8, v25
	s_cbranch_execnz .LBB8_137
.LBB8_136:                              ;   in Loop: Header=BB8_134 Depth=4
	v_add_u32_e32 v6, s35, v19
	v_mov_b32_e32 v8, v26
.LBB8_137:                              ;   in Loop: Header=BB8_134 Depth=4
	v_ashrrev_i32_e32 v7, 31, v6
	v_lshlrev_b64 v[6:7], 3, v[6:7]
	v_mov_b32_e32 v9, s17
	v_add_co_u32_e32 v10, vcc, s16, v6
	v_addc_co_u32_e32 v11, vcc, v9, v7, vcc
	v_ashrrev_i32_e32 v9, 31, v8
	v_lshlrev_b64 v[6:7], 3, v[8:9]
	v_mov_b32_e32 v8, s17
	v_add_co_u32_e32 v12, vcc, s16, v6
	v_addc_co_u32_e32 v13, vcc, v8, v7, vcc
	global_load_dwordx2 v[6:7], v[10:11], off
	global_load_dwordx2 v[8:9], v[12:13], off
	s_and_b64 vcc, exec, s[12:13]
	v_add_u32_e32 v10, s36, v24
	s_cbranch_vccz .LBB8_143
; %bb.138:                              ;   in Loop: Header=BB8_134 Depth=4
	v_add_u32_e32 v12, s36, v24
	v_add_u32_e32 v11, s35, v22
	s_cbranch_execnz .LBB8_140
.LBB8_139:                              ;   in Loop: Header=BB8_134 Depth=4
	v_add_u32_e32 v12, s35, v22
.LBB8_140:                              ;   in Loop: Header=BB8_134 Depth=4
	v_ashrrev_i32_e32 v13, 31, v12
	v_lshlrev_b64 v[12:13], 3, v[12:13]
	v_mov_b32_e32 v27, s17
	v_add_co_u32_e32 v12, vcc, s16, v12
	v_addc_co_u32_e32 v13, vcc, v27, v13, vcc
	global_load_dwordx2 v[12:13], v[12:13], off
	s_and_b64 vcc, exec, s[12:13]
	s_cbranch_vccz .LBB8_144
; %bb.141:                              ;   in Loop: Header=BB8_134 Depth=4
	s_cbranch_execnz .LBB8_133
	s_branch .LBB8_132
.LBB8_142:                              ;   in Loop: Header=BB8_134 Depth=4
                                        ; implicit-def: $vgpr6
	v_mov_b32_e32 v8, v25
	s_branch .LBB8_136
.LBB8_143:                              ;   in Loop: Header=BB8_134 Depth=4
                                        ; implicit-def: $vgpr12
	v_add_u32_e32 v11, s35, v22
	s_branch .LBB8_139
.LBB8_144:                              ;   in Loop: Header=BB8_134 Depth=4
                                        ; implicit-def: $vgpr10
	s_branch .LBB8_132
.LBB8_145:
	s_or_b64 exec, exec, s[10:11]
	s_orn2_b64 s[0:1], s[6:7], exec
.LBB8_146:
	s_or_b64 exec, exec, s[26:27]
	v_cmp_eq_u32_e32 vcc, 0, v0
	s_and_b64 exec, exec, vcc
	s_cbranch_execz .LBB8_152
; %bb.147:
	v_mov_b32_e32 v1, s25
	v_add_co_u32_e32 v0, vcc, s24, v4
	v_addc_co_u32_e32 v1, vcc, v1, v5, vcc
	v_mov_b32_e32 v3, 1
	s_waitcnt vmcnt(0)
	global_store_dword v[0:1], v3, off
	s_and_b64 exec, exec, s[0:1]
	s_cbranch_execz .LBB8_152
; %bb.148:
	s_mov_b64 s[0:1], exec
	v_add_u32_e32 v0, s28, v2
	s_brev_b32 s2, -2
.LBB8_149:                              ; =>This Inner Loop Header: Depth=1
	s_ff1_i32_b64 s3, s[0:1]
	v_readlane_b32 s6, v0, s3
	s_lshl_b64 s[4:5], 1, s3
	s_min_i32 s2, s2, s6
	s_andn2_b64 s[0:1], s[0:1], s[4:5]
	s_cmp_lg_u64 s[0:1], 0
	s_cbranch_scc1 .LBB8_149
; %bb.150:
	v_mbcnt_lo_u32_b32 v0, exec_lo, 0
	v_mbcnt_hi_u32_b32 v0, exec_hi, v0
	v_cmp_eq_u32_e32 vcc, 0, v0
	s_and_saveexec_b64 s[0:1], vcc
	s_xor_b64 s[0:1], exec, s[0:1]
	s_cbranch_execz .LBB8_152
; %bb.151:
	v_mov_b32_e32 v0, 0
	v_mov_b32_e32 v1, s2
	global_atomic_smin v0, v1, s[22:23]
.LBB8_152:
	s_endpgm
	.section	.rodata,"a",@progbits
	.p2align	6, 0x0
	.amdhsa_kernel _ZN9rocsparseL15bsrilu0_generalILj128ELj32ELb0EdEEv20rocsparse_direction_iPKiS3_PT2_S3_iPiS3_S6_21rocsparse_index_base_imNS_24const_host_device_scalarIfEENS8_IdEENS8_IS4_EEb
		.amdhsa_group_segment_fixed_size 0
		.amdhsa_private_segment_fixed_size 0
		.amdhsa_kernarg_size 116
		.amdhsa_user_sgpr_count 6
		.amdhsa_user_sgpr_private_segment_buffer 1
		.amdhsa_user_sgpr_dispatch_ptr 0
		.amdhsa_user_sgpr_queue_ptr 0
		.amdhsa_user_sgpr_kernarg_segment_ptr 1
		.amdhsa_user_sgpr_dispatch_id 0
		.amdhsa_user_sgpr_flat_scratch_init 0
		.amdhsa_user_sgpr_kernarg_preload_length 0
		.amdhsa_user_sgpr_kernarg_preload_offset 0
		.amdhsa_user_sgpr_private_segment_size 0
		.amdhsa_uses_dynamic_stack 0
		.amdhsa_system_sgpr_private_segment_wavefront_offset 0
		.amdhsa_system_sgpr_workgroup_id_x 1
		.amdhsa_system_sgpr_workgroup_id_y 0
		.amdhsa_system_sgpr_workgroup_id_z 0
		.amdhsa_system_sgpr_workgroup_info 0
		.amdhsa_system_vgpr_workitem_id 0
		.amdhsa_next_free_vgpr 44
		.amdhsa_next_free_sgpr 65
		.amdhsa_accum_offset 44
		.amdhsa_reserve_vcc 1
		.amdhsa_reserve_flat_scratch 0
		.amdhsa_float_round_mode_32 0
		.amdhsa_float_round_mode_16_64 0
		.amdhsa_float_denorm_mode_32 3
		.amdhsa_float_denorm_mode_16_64 3
		.amdhsa_dx10_clamp 1
		.amdhsa_ieee_mode 1
		.amdhsa_fp16_overflow 0
		.amdhsa_tg_split 0
		.amdhsa_exception_fp_ieee_invalid_op 0
		.amdhsa_exception_fp_denorm_src 0
		.amdhsa_exception_fp_ieee_div_zero 0
		.amdhsa_exception_fp_ieee_overflow 0
		.amdhsa_exception_fp_ieee_underflow 0
		.amdhsa_exception_fp_ieee_inexact 0
		.amdhsa_exception_int_div_zero 0
	.end_amdhsa_kernel
	.section	.text._ZN9rocsparseL15bsrilu0_generalILj128ELj32ELb0EdEEv20rocsparse_direction_iPKiS3_PT2_S3_iPiS3_S6_21rocsparse_index_base_imNS_24const_host_device_scalarIfEENS8_IdEENS8_IS4_EEb,"axG",@progbits,_ZN9rocsparseL15bsrilu0_generalILj128ELj32ELb0EdEEv20rocsparse_direction_iPKiS3_PT2_S3_iPiS3_S6_21rocsparse_index_base_imNS_24const_host_device_scalarIfEENS8_IdEENS8_IS4_EEb,comdat
.Lfunc_end8:
	.size	_ZN9rocsparseL15bsrilu0_generalILj128ELj32ELb0EdEEv20rocsparse_direction_iPKiS3_PT2_S3_iPiS3_S6_21rocsparse_index_base_imNS_24const_host_device_scalarIfEENS8_IdEENS8_IS4_EEb, .Lfunc_end8-_ZN9rocsparseL15bsrilu0_generalILj128ELj32ELb0EdEEv20rocsparse_direction_iPKiS3_PT2_S3_iPiS3_S6_21rocsparse_index_base_imNS_24const_host_device_scalarIfEENS8_IdEENS8_IS4_EEb
                                        ; -- End function
	.section	.AMDGPU.csdata,"",@progbits
; Kernel info:
; codeLenInByte = 3884
; NumSgprs: 69
; NumVgprs: 44
; NumAgprs: 0
; TotalNumVgprs: 44
; ScratchSize: 0
; MemoryBound: 0
; FloatMode: 240
; IeeeMode: 1
; LDSByteSize: 0 bytes/workgroup (compile time only)
; SGPRBlocks: 8
; VGPRBlocks: 5
; NumSGPRsForWavesPerEU: 69
; NumVGPRsForWavesPerEU: 44
; AccumOffset: 44
; Occupancy: 8
; WaveLimiterHint : 1
; COMPUTE_PGM_RSRC2:SCRATCH_EN: 0
; COMPUTE_PGM_RSRC2:USER_SGPR: 6
; COMPUTE_PGM_RSRC2:TRAP_HANDLER: 0
; COMPUTE_PGM_RSRC2:TGID_X_EN: 1
; COMPUTE_PGM_RSRC2:TGID_Y_EN: 0
; COMPUTE_PGM_RSRC2:TGID_Z_EN: 0
; COMPUTE_PGM_RSRC2:TIDIG_COMP_CNT: 0
; COMPUTE_PGM_RSRC3_GFX90A:ACCUM_OFFSET: 10
; COMPUTE_PGM_RSRC3_GFX90A:TG_SPLIT: 0
	.section	.text._ZN9rocsparseL11bsrilu0_2_8ILj64ELj64ELj8EdEEv20rocsparse_direction_iPKiS3_PT2_S3_iPiS3_S6_21rocsparse_index_base_imNS_24const_host_device_scalarIfEENS8_IdEENS8_IS4_EEb,"axG",@progbits,_ZN9rocsparseL11bsrilu0_2_8ILj64ELj64ELj8EdEEv20rocsparse_direction_iPKiS3_PT2_S3_iPiS3_S6_21rocsparse_index_base_imNS_24const_host_device_scalarIfEENS8_IdEENS8_IS4_EEb,comdat
	.globl	_ZN9rocsparseL11bsrilu0_2_8ILj64ELj64ELj8EdEEv20rocsparse_direction_iPKiS3_PT2_S3_iPiS3_S6_21rocsparse_index_base_imNS_24const_host_device_scalarIfEENS8_IdEENS8_IS4_EEb ; -- Begin function _ZN9rocsparseL11bsrilu0_2_8ILj64ELj64ELj8EdEEv20rocsparse_direction_iPKiS3_PT2_S3_iPiS3_S6_21rocsparse_index_base_imNS_24const_host_device_scalarIfEENS8_IdEENS8_IS4_EEb
	.p2align	8
	.type	_ZN9rocsparseL11bsrilu0_2_8ILj64ELj64ELj8EdEEv20rocsparse_direction_iPKiS3_PT2_S3_iPiS3_S6_21rocsparse_index_base_imNS_24const_host_device_scalarIfEENS8_IdEENS8_IS4_EEb,@function
_ZN9rocsparseL11bsrilu0_2_8ILj64ELj64ELj8EdEEv20rocsparse_direction_iPKiS3_PT2_S3_iPiS3_S6_21rocsparse_index_base_imNS_24const_host_device_scalarIfEENS8_IdEENS8_IS4_EEb: ; @_ZN9rocsparseL11bsrilu0_2_8ILj64ELj64ELj8EdEEv20rocsparse_direction_iPKiS3_PT2_S3_iPiS3_S6_21rocsparse_index_base_imNS_24const_host_device_scalarIfEENS8_IdEENS8_IS4_EEb
; %bb.0:
	s_load_dword s0, s[4:5], 0x70
	s_load_dwordx2 s[24:25], s[4:5], 0x48
	s_load_dwordx8 s[16:23], s[4:5], 0x50
	s_waitcnt lgkmcnt(0)
	s_bitcmp1_b32 s0, 0
	s_cselect_b64 s[0:1], -1, 0
	s_cmp_lg_u32 s25, 0
	s_cselect_b64 s[36:37], -1, 0
	s_cmp_eq_u32 s25, 0
	s_cselect_b64 s[2:3], -1, 0
	s_and_b64 s[8:9], s[2:3], exec
	s_cselect_b32 s10, 0, s20
	s_cselect_b32 s11, 0, s21
	s_or_b64 s[0:1], s[2:3], s[0:1]
	s_xor_b64 s[8:9], s[0:1], -1
	s_and_b64 vcc, exec, s[0:1]
	s_cbranch_vccnz .LBB9_2
; %bb.1:
	s_load_dword s0, s[18:19], 0x0
	s_mov_b64 s[10:11], s[20:21]
	s_waitcnt lgkmcnt(0)
	v_mov_b32_e32 v1, s0
	s_branch .LBB9_3
.LBB9_2:
	v_mov_b32_e32 v1, s18
	v_cndmask_b32_e64 v1, v1, 0, s[2:3]
.LBB9_3:
	v_cndmask_b32_e64 v2, 0, 1, s[8:9]
	v_cmp_ne_u32_e64 s[0:1], 1, v2
	s_andn2_b64 vcc, exec, s[8:9]
	v_pk_mov_b32 v[4:5], s[10:11], s[10:11] op_sel:[0,1]
	s_cbranch_vccnz .LBB9_5
; %bb.4:
	v_pk_mov_b32 v[2:3], s[20:21], s[20:21] op_sel:[0,1]
	flat_load_dwordx2 v[4:5], v[2:3]
.LBB9_5:
	s_and_b64 s[2:3], s[2:3], exec
	s_cselect_b32 s3, 0, s23
	s_cselect_b32 s2, 0, s22
	s_mov_b32 s7, 0
	s_and_b64 vcc, exec, s[0:1]
	v_pk_mov_b32 v[2:3], s[2:3], s[2:3] op_sel:[0,1]
	s_cbranch_vccnz .LBB9_7
; %bb.6:
	v_pk_mov_b32 v[2:3], s[22:23], s[22:23] op_sel:[0,1]
	flat_load_dwordx2 v[2:3], v[2:3]
.LBB9_7:
	s_load_dwordx4 s[20:23], s[4:5], 0x30
	s_load_dwordx2 s[18:19], s[4:5], 0x40
	s_lshl_b64 s[0:1], s[6:7], 2
	s_waitcnt lgkmcnt(0)
	s_add_u32 s0, s22, s0
	s_addc_u32 s1, s23, s1
	s_load_dword s22, s[0:1], 0x0
	s_load_dwordx8 s[8:15], s[4:5], 0x8
	s_waitcnt lgkmcnt(0)
	s_ashr_i32 s23, s22, 31
	s_lshl_b64 s[26:27], s[22:23], 2
	s_add_u32 s0, s14, s26
	s_addc_u32 s1, s15, s27
	s_load_dword s30, s[0:1], 0x0
	s_waitcnt lgkmcnt(0)
	s_cmp_eq_u32 s30, -1
	s_cbranch_scc1 .LBB9_81
; %bb.8:
	s_add_u32 s0, s8, s26
	s_addc_u32 s1, s9, s27
	s_load_dwordx2 s[2:3], s[0:1], 0x0
	s_load_dwordx2 s[34:35], s[4:5], 0x0
	s_load_dword s23, s[4:5], 0x28
	s_mov_b64 s[28:29], 0
	s_waitcnt lgkmcnt(0)
	s_sub_i32 s38, s2, s24
	s_sub_i32 s25, s3, s24
	s_cmp_ge_i32 s38, s30
	s_cbranch_scc1 .LBB9_59
; %bb.9:
	s_cmp_eq_u32 s34, 0
	s_cselect_b64 vcc, -1, 0
	s_cmp_gt_i32 s23, 0
	s_cselect_b64 s[40:41], -1, 0
	s_add_u32 s42, s4, 0x78
	s_addc_u32 s43, s5, 0
	s_add_i32 s31, s35, 1
	s_cmp_lg_u32 s23, 1
	s_cselect_b64 s[44:45], -1, 0
	s_and_b32 s33, s23, 0x7ffffffe
	v_bfe_u32 v9, v0, 10, 10
	s_bitcmp1_b32 s23, 0
	v_and_b32_e32 v7, 0x3ff, v0
	s_cselect_b64 s[46:47], -1, 0
	s_add_u32 s35, s8, 4
	v_mul_u32_u24_e32 v11, 9, v9
	v_lshlrev_b32_e32 v10, 3, v7
	s_movk_i32 s0, 0x48
	s_addc_u32 s56, s9, 0
	v_lshlrev_b32_e32 v22, 3, v11
	v_mad_u32_u24 v18, v9, s0, v10
	v_max_u32_e32 v6, v7, v9
	s_add_u32 s57, s10, 0x100
	v_add_u32_e32 v11, v22, v10
	v_add_u32_e32 v25, 0x240, v10
	v_mbcnt_lo_u32_b32 v10, -1, 0
	v_add_u32_e32 v19, 0x240, v18
	v_mul_u32_u24_e32 v20, 0x48, v9
	v_cmp_gt_u32_e64 s[0:1], s23, v6
	v_cmp_eq_u32_e64 s[2:3], 0, v9
	v_add_u32_e32 v21, s38, v7
	v_cndmask_b32_e32 v6, v9, v7, vcc
	v_cndmask_b32_e32 v8, v7, v9, vcc
	s_addc_u32 s58, s11, 0
	v_add_u32_e32 v23, 0x2d0, v11
	v_add_u32_e32 v24, 0x288, v11
	;; [unrolled: 1-line block ×4, first 2 shown]
	v_mov_b32_e32 v28, 0
	v_cndmask_b32_e64 v29, 0, 1, s[40:41]
	v_mbcnt_hi_u32_b32 v30, -1, v10
	s_branch .LBB9_12
.LBB9_10:                               ;   in Loop: Header=BB9_12 Depth=1
	s_mov_b64 s[28:29], -1
.LBB9_11:                               ;   in Loop: Header=BB9_12 Depth=1
	s_add_i32 s38, s38, 1
	s_cmp_lt_i32 s38, s30
	s_cselect_b64 s[4:5], -1, 0
	s_and_b64 s[4:5], s[8:9], s[4:5]
	s_and_b64 vcc, exec, s[4:5]
	s_cbranch_vccz .LBB9_59
.LBB9_12:                               ; =>This Loop Header: Depth=1
                                        ;     Child Loop BB9_16 Depth 2
                                        ;     Child Loop BB9_23 Depth 2
	;; [unrolled: 1-line block ×3, first 2 shown]
                                        ;       Child Loop BB9_48 Depth 3
                                        ;       Child Loop BB9_56 Depth 3
	s_ashr_i32 s39, s38, 31
	s_lshl_b64 s[4:5], s[38:39], 2
	s_add_u32 s4, s10, s4
	s_addc_u32 s5, s11, s5
	global_load_dword v10, v28, s[4:5]
	s_waitcnt vmcnt(0)
	v_readfirstlane_b32 s6, v10
	v_pk_mov_b32 v[10:11], 0, 0
	s_and_saveexec_b64 s[4:5], s[0:1]
	s_cbranch_execz .LBB9_14
; %bb.13:                               ;   in Loop: Header=BB9_12 Depth=1
	s_mul_i32 s7, s38, s23
	v_add_u32_e32 v10, s7, v6
	v_mad_u64_u32 v[10:11], s[8:9], v10, s23, v[8:9]
	v_mov_b32_e32 v11, v28
	v_lshlrev_b64 v[10:11], 3, v[10:11]
	v_mov_b32_e32 v12, s13
	v_add_co_u32_e32 v10, vcc, s12, v10
	v_addc_co_u32_e32 v11, vcc, v12, v11, vcc
	global_load_dwordx2 v[10:11], v[10:11], off
.LBB9_14:                               ;   in Loop: Header=BB9_12 Depth=1
	s_or_b64 exec, exec, s[4:5]
	s_sub_i32 s4, s6, s24
	s_ashr_i32 s5, s4, 31
	s_lshl_b64 s[4:5], s[4:5], 2
	s_add_u32 s6, s14, s4
	s_addc_u32 s7, s15, s5
	global_load_dword v12, v28, s[6:7]
	s_waitcnt vmcnt(1)
	ds_write_b64 v19, v[10:11]
	s_waitcnt vmcnt(0)
	v_readfirstlane_b32 s39, v12
	v_cmp_eq_u32_e32 vcc, -1, v12
	s_cmp_lg_u32 s39, -1
	s_cselect_b64 s[8:9], -1, 0
	s_cbranch_vccnz .LBB9_10
; %bb.15:                               ;   in Loop: Header=BB9_12 Depth=1
	s_add_u32 s6, s35, s4
	s_addc_u32 s7, s56, s5
	global_load_dword v10, v28, s[6:7]
	s_add_u32 s4, s20, s4
	s_addc_u32 s5, s21, s5
	s_waitcnt vmcnt(0)
	v_readfirstlane_b32 s48, v10
.LBB9_16:                               ;   Parent Loop BB9_12 Depth=1
                                        ; =>  This Inner Loop Header: Depth=2
	global_load_dword v10, v28, s[4:5] glc
	s_waitcnt vmcnt(0)
	v_cmp_eq_u32_e32 vcc, 0, v10
	s_cbranch_vccnz .LBB9_16
; %bb.17:                               ;   in Loop: Header=BB9_12 Depth=1
	v_pk_mov_b32 v[10:11], 0, 0
	s_waitcnt lgkmcnt(0)
	buffer_wbinvl1_vol
	s_and_saveexec_b64 s[4:5], s[0:1]
	s_cbranch_execz .LBB9_19
; %bb.18:                               ;   in Loop: Header=BB9_12 Depth=1
	s_mul_i32 s6, s39, s23
	v_add_u32_e32 v10, s6, v6
	v_mad_u64_u32 v[10:11], s[6:7], v10, s23, v[8:9]
	v_mov_b32_e32 v11, v28
	v_lshlrev_b64 v[10:11], 3, v[10:11]
	v_mov_b32_e32 v12, s13
	v_add_co_u32_e32 v10, vcc, s12, v10
	v_addc_co_u32_e32 v11, vcc, v12, v11, vcc
	global_load_dwordx2 v[10:11], v[10:11], off
.LBB9_19:                               ;   in Loop: Header=BB9_12 Depth=1
	s_or_b64 exec, exec, s[4:5]
	v_cmp_ne_u32_e64 s[4:5], 1, v29
	s_andn2_b64 vcc, exec, s[40:41]
	s_waitcnt vmcnt(0)
	ds_write_b64 v18, v[10:11]
	s_waitcnt lgkmcnt(0)
	s_cbranch_vccnz .LBB9_37
; %bb.20:                               ;   in Loop: Header=BB9_12 Depth=1
	s_andn2_b64 vcc, exec, s[44:45]
	s_mov_b32 s51, 0
	s_cbranch_vccnz .LBB9_31
; %bb.21:                               ;   in Loop: Header=BB9_12 Depth=1
	s_mov_b32 s49, 0
	v_mov_b32_e32 v12, v27
	v_mov_b32_e32 v13, v26
	;; [unrolled: 1-line block ×5, first 2 shown]
	s_mov_b32 s50, 0
	s_branch .LBB9_23
.LBB9_22:                               ;   in Loop: Header=BB9_23 Depth=2
	s_or_b64 exec, exec, s[6:7]
	s_add_i32 s50, s50, 2
	s_addk_i32 s49, 0xa0
	v_add_u32_e32 v16, 0x90, v16
	v_add_u32_e32 v15, 0x90, v15
	;; [unrolled: 1-line block ×5, first 2 shown]
	s_cmp_eq_u32 s33, s50
	s_mov_b32 s51, s33
	s_waitcnt lgkmcnt(0)
	s_cbranch_scc1 .LBB9_31
.LBB9_23:                               ;   Parent Loop BB9_12 Depth=1
                                        ; =>  This Inner Loop Header: Depth=2
	v_mov_b32_e32 v10, s49
	ds_read_b64 v[10:11], v10
	ds_read_b64 v[32:33], v14
	s_waitcnt lgkmcnt(0)
	v_div_scale_f64 v[34:35], s[6:7], v[10:11], v[10:11], v[32:33]
	v_rcp_f64_e32 v[36:37], v[34:35]
	v_div_scale_f64 v[38:39], vcc, v[32:33], v[10:11], v[32:33]
	v_fma_f64 v[40:41], -v[34:35], v[36:37], 1.0
	v_fmac_f64_e32 v[36:37], v[36:37], v[40:41]
	v_fma_f64 v[40:41], -v[34:35], v[36:37], 1.0
	v_fmac_f64_e32 v[36:37], v[36:37], v[40:41]
	v_mul_f64 v[40:41], v[38:39], v[36:37]
	v_fma_f64 v[34:35], -v[34:35], v[40:41], v[38:39]
	v_div_fmas_f64 v[34:35], v[34:35], v[36:37], v[40:41]
	v_div_fixup_f64 v[10:11], v[34:35], v[10:11], v[32:33]
	s_and_saveexec_b64 s[6:7], s[2:3]
	s_cbranch_execz .LBB9_25
; %bb.24:                               ;   in Loop: Header=BB9_23 Depth=2
	ds_write_b64 v14, v[10:11]
.LBB9_25:                               ;   in Loop: Header=BB9_23 Depth=2
	s_or_b64 exec, exec, s[6:7]
	v_add_u32_e32 v17, s50, v9
	v_add_u32_e32 v31, 1, v17
	v_cmp_gt_i32_e32 vcc, s23, v31
	s_and_saveexec_b64 s[6:7], vcc
	s_cbranch_execz .LBB9_27
; %bb.26:                               ;   in Loop: Header=BB9_23 Depth=2
	ds_read_b64 v[32:33], v12
	ds_read_b64 v[34:35], v15
	s_waitcnt lgkmcnt(0)
	v_fma_f64 v[10:11], -v[10:11], v[32:33], v[34:35]
	ds_write_b64 v15, v[10:11]
.LBB9_27:                               ;   in Loop: Header=BB9_23 Depth=2
	s_or_b64 exec, exec, s[6:7]
	v_mov_b32_e32 v10, s49
	s_waitcnt lgkmcnt(0)
	ds_read_b64 v[10:11], v10 offset:80
	ds_read_b64 v[32:33], v14 offset:72
	s_waitcnt lgkmcnt(0)
	v_div_scale_f64 v[34:35], s[6:7], v[10:11], v[10:11], v[32:33]
	v_rcp_f64_e32 v[36:37], v[34:35]
	v_div_scale_f64 v[38:39], vcc, v[32:33], v[10:11], v[32:33]
	v_fma_f64 v[40:41], -v[34:35], v[36:37], 1.0
	v_fmac_f64_e32 v[36:37], v[36:37], v[40:41]
	v_fma_f64 v[40:41], -v[34:35], v[36:37], 1.0
	v_fmac_f64_e32 v[36:37], v[36:37], v[40:41]
	v_mul_f64 v[40:41], v[38:39], v[36:37]
	v_fma_f64 v[34:35], -v[34:35], v[40:41], v[38:39]
	v_div_fmas_f64 v[34:35], v[34:35], v[36:37], v[40:41]
	v_div_fixup_f64 v[10:11], v[34:35], v[10:11], v[32:33]
	s_and_saveexec_b64 s[6:7], s[2:3]
	s_cbranch_execz .LBB9_29
; %bb.28:                               ;   in Loop: Header=BB9_23 Depth=2
	ds_write_b64 v14, v[10:11] offset:72
.LBB9_29:                               ;   in Loop: Header=BB9_23 Depth=2
	s_or_b64 exec, exec, s[6:7]
	v_add_u32_e32 v17, 2, v17
	v_cmp_gt_i32_e32 vcc, s23, v17
	s_and_saveexec_b64 s[6:7], vcc
	s_cbranch_execz .LBB9_22
; %bb.30:                               ;   in Loop: Header=BB9_23 Depth=2
	ds_read_b64 v[32:33], v13
	ds_read_b64 v[34:35], v16
	s_waitcnt lgkmcnt(0)
	v_fma_f64 v[10:11], -v[10:11], v[32:33], v[34:35]
	ds_write_b64 v16, v[10:11]
	s_branch .LBB9_22
.LBB9_31:                               ;   in Loop: Header=BB9_12 Depth=1
	s_andn2_b64 vcc, exec, s[46:47]
	s_cbranch_vccnz .LBB9_37
; %bb.32:                               ;   in Loop: Header=BB9_12 Depth=1
	s_lshl_b32 s6, s51, 3
	s_mul_i32 s7, s51, 0x48
	s_add_i32 s49, s7, s6
	v_mov_b32_e32 v10, s49
	v_lshl_add_u32 v12, v7, 3, s7
	ds_read_b64 v[10:11], v10
	ds_read_b64 v[14:15], v12 offset:576
	v_add_u32_e32 v12, 0x240, v12
	s_waitcnt lgkmcnt(0)
	v_div_scale_f64 v[16:17], s[6:7], v[10:11], v[10:11], v[14:15]
	v_rcp_f64_e32 v[32:33], v[16:17]
	v_div_scale_f64 v[34:35], vcc, v[14:15], v[10:11], v[14:15]
	v_fma_f64 v[36:37], -v[16:17], v[32:33], 1.0
	v_fmac_f64_e32 v[32:33], v[32:33], v[36:37]
	v_fma_f64 v[36:37], -v[16:17], v[32:33], 1.0
	v_fmac_f64_e32 v[32:33], v[32:33], v[36:37]
	v_mul_f64 v[36:37], v[34:35], v[32:33]
	v_fma_f64 v[16:17], -v[16:17], v[36:37], v[34:35]
	v_div_fmas_f64 v[16:17], v[16:17], v[32:33], v[36:37]
	v_div_fixup_f64 v[10:11], v[16:17], v[10:11], v[14:15]
	s_and_saveexec_b64 s[6:7], s[2:3]
	s_cbranch_execz .LBB9_34
; %bb.33:                               ;   in Loop: Header=BB9_12 Depth=1
	ds_write_b64 v12, v[10:11]
.LBB9_34:                               ;   in Loop: Header=BB9_12 Depth=1
	s_or_b64 exec, exec, s[6:7]
	v_add3_u32 v13, s51, 1, v9
	v_cmp_gt_i32_e32 vcc, s23, v13
	s_and_saveexec_b64 s[6:7], vcc
	s_cbranch_execz .LBB9_36
; %bb.35:                               ;   in Loop: Header=BB9_12 Depth=1
	v_add_u32_e32 v13, s49, v22
	v_add_u32_e32 v16, v12, v22
	ds_read_b64 v[12:13], v13 offset:72
	ds_read_b64 v[14:15], v16 offset:72
	s_waitcnt lgkmcnt(0)
	v_fma_f64 v[10:11], -v[10:11], v[12:13], v[14:15]
	ds_write_b64 v16, v[10:11] offset:72
.LBB9_36:                               ;   in Loop: Header=BB9_12 Depth=1
	s_or_b64 exec, exec, s[6:7]
	s_waitcnt lgkmcnt(0)
.LBB9_37:                               ;   in Loop: Header=BB9_12 Depth=1
	s_and_saveexec_b64 s[6:7], s[0:1]
	s_cbranch_execz .LBB9_39
; %bb.38:                               ;   in Loop: Header=BB9_12 Depth=1
	s_mul_i32 s49, s38, s23
	v_add_u32_e32 v12, s49, v6
	ds_read_b64 v[10:11], v19
	v_mad_u64_u32 v[12:13], s[50:51], v12, s23, v[8:9]
	v_mov_b32_e32 v13, v28
	v_lshlrev_b64 v[12:13], 3, v[12:13]
	v_mov_b32_e32 v14, s13
	v_add_co_u32_e32 v12, vcc, s12, v12
	v_addc_co_u32_e32 v13, vcc, v14, v13, vcc
	s_waitcnt lgkmcnt(0)
	global_store_dwordx2 v[12:13], v[10:11], off
.LBB9_39:                               ;   in Loop: Header=BB9_12 Depth=1
	s_or_b64 exec, exec, s[6:7]
	s_sub_i32 s59, s48, s24
	s_add_i32 s48, s39, 1
	s_cmp_ge_i32 s48, s59
	s_cbranch_scc1 .LBB9_11
; %bb.40:                               ;   in Loop: Header=BB9_12 Depth=1
	s_load_dword s6, s[42:43], 0xc
	v_mov_b32_e32 v14, s11
	s_waitcnt lgkmcnt(0)
	s_and_b32 s6, s6, 0xffff
	v_mad_u32_u24 v10, v9, s6, v21
	v_ashrrev_i32_e32 v11, 31, v10
	v_lshlrev_b64 v[12:13], 2, v[10:11]
	v_add_co_u32_e32 v12, vcc, s10, v12
	v_cmp_gt_i32_e64 s[6:7], s25, v10
	v_addc_co_u32_e32 v13, vcc, v14, v13, vcc
	s_branch .LBB9_43
.LBB9_41:                               ;   in Loop: Header=BB9_43 Depth=2
	s_or_b64 exec, exec, s[50:51]
.LBB9_42:                               ;   in Loop: Header=BB9_43 Depth=2
	s_add_i32 s48, s48, 1
	s_cmp_lt_i32 s48, s59
	s_cbranch_scc0 .LBB9_11
.LBB9_43:                               ;   Parent Loop BB9_12 Depth=1
                                        ; =>  This Loop Header: Depth=2
                                        ;       Child Loop BB9_48 Depth 3
                                        ;       Child Loop BB9_56 Depth 3
	s_ashr_i32 s49, s48, 31
	s_lshl_b64 s[50:51], s[48:49], 2
	s_add_u32 s50, s10, s50
	s_addc_u32 s51, s11, s51
	global_load_dword v11, v28, s[50:51]
	v_mov_b32_e32 v15, s31
	s_and_saveexec_b64 s[50:51], s[6:7]
	s_cbranch_execz .LBB9_45
; %bb.44:                               ;   in Loop: Header=BB9_43 Depth=2
	global_load_dword v14, v[12:13], off
	s_waitcnt vmcnt(0)
	v_subrev_u32_e32 v15, s24, v14
.LBB9_45:                               ;   in Loop: Header=BB9_43 Depth=2
	s_or_b64 exec, exec, s[50:51]
	s_waitcnt vmcnt(0)
	v_subrev_u32_e32 v11, s24, v11
	v_cmp_lt_i32_e32 vcc, v15, v11
	v_mov_b32_e32 v16, v10
	s_and_saveexec_b64 s[50:51], vcc
	s_cbranch_execz .LBB9_51
; %bb.46:                               ;   in Loop: Header=BB9_43 Depth=2
	s_mov_b64 s[52:53], 0
	v_mov_b32_e32 v14, v10
	s_branch .LBB9_48
.LBB9_47:                               ;   in Loop: Header=BB9_48 Depth=3
	s_or_b64 exec, exec, s[54:55]
	v_cmp_ge_i32_e32 vcc, v15, v11
	s_or_b64 s[52:53], vcc, s[52:53]
	v_mov_b32_e32 v14, v16
	s_andn2_b64 exec, exec, s[52:53]
	s_cbranch_execz .LBB9_50
.LBB9_48:                               ;   Parent Loop BB9_12 Depth=1
                                        ;     Parent Loop BB9_43 Depth=2
                                        ; =>    This Inner Loop Header: Depth=3
	v_add_u32_e32 v16, 64, v14
	v_cmp_gt_i32_e32 vcc, s25, v16
	v_mov_b32_e32 v15, s31
	s_and_saveexec_b64 s[54:55], vcc
	s_cbranch_execz .LBB9_47
; %bb.49:                               ;   in Loop: Header=BB9_48 Depth=3
	v_ashrrev_i32_e32 v15, 31, v14
	v_lshlrev_b64 v[14:15], 2, v[14:15]
	v_mov_b32_e32 v17, s58
	v_add_co_u32_e32 v14, vcc, s57, v14
	v_addc_co_u32_e32 v15, vcc, v17, v15, vcc
	global_load_dword v14, v[14:15], off
	s_waitcnt vmcnt(0)
	v_subrev_u32_e32 v15, s24, v14
	s_branch .LBB9_47
.LBB9_50:                               ;   in Loop: Header=BB9_43 Depth=2
	s_or_b64 exec, exec, s[52:53]
.LBB9_51:                               ;   in Loop: Header=BB9_43 Depth=2
	s_or_b64 exec, exec, s[50:51]
	v_cmp_eq_u32_e32 vcc, v15, v11
	s_cbranch_vccz .LBB9_42
; %bb.52:                               ;   in Loop: Header=BB9_43 Depth=2
	s_ff1_i32_b64 s39, vcc
	v_and_or_b32 v11, v30, 64, s39
	v_lshlrev_b32_e32 v11, 2, v11
	ds_bpermute_b32 v11, v11, v16
	v_pk_mov_b32 v[14:15], 0, 0
	v_pk_mov_b32 v[16:17], v[14:15], v[14:15] op_sel:[0,1]
	s_and_saveexec_b64 s[50:51], s[0:1]
	s_cbranch_execz .LBB9_54
; %bb.53:                               ;   in Loop: Header=BB9_43 Depth=2
	s_mul_i32 s39, s48, s23
	v_add_u32_e32 v16, s39, v6
	v_mad_u64_u32 v[16:17], s[52:53], v16, s23, v[8:9]
	v_mov_b32_e32 v17, v28
	v_lshlrev_b64 v[16:17], 3, v[16:17]
	v_mov_b32_e32 v31, s13
	v_add_co_u32_e32 v16, vcc, s12, v16
	v_addc_co_u32_e32 v17, vcc, v31, v17, vcc
	global_load_dwordx2 v[16:17], v[16:17], off
.LBB9_54:                               ;   in Loop: Header=BB9_43 Depth=2
	s_or_b64 exec, exec, s[50:51]
	s_and_b64 vcc, exec, s[4:5]
	s_waitcnt vmcnt(0)
	ds_write_b64 v18, v[16:17]
	s_waitcnt lgkmcnt(0)
	s_cbranch_vccnz .LBB9_57
; %bb.55:                               ;   in Loop: Header=BB9_43 Depth=2
	v_pk_mov_b32 v[14:15], 0, 0
	v_mov_b32_e32 v16, v25
	v_mov_b32_e32 v17, v20
	s_mov_b32 s39, s23
.LBB9_56:                               ;   Parent Loop BB9_12 Depth=1
                                        ;     Parent Loop BB9_43 Depth=2
                                        ; =>    This Inner Loop Header: Depth=3
	ds_read_b64 v[32:33], v16
	ds_read_b64 v[34:35], v17
	s_add_i32 s39, s39, -1
	v_add_u32_e32 v17, 8, v17
	v_add_u32_e32 v16, 0x48, v16
	s_cmp_eq_u32 s39, 0
	s_waitcnt lgkmcnt(0)
	v_fmac_f64_e32 v[14:15], v[32:33], v[34:35]
	s_cbranch_scc0 .LBB9_56
.LBB9_57:                               ;   in Loop: Header=BB9_43 Depth=2
	s_and_saveexec_b64 s[50:51], s[0:1]
	s_cbranch_execz .LBB9_41
; %bb.58:                               ;   in Loop: Header=BB9_43 Depth=2
	v_mad_u64_u32 v[16:17], s[52:53], v11, s23, v[6:7]
	v_mad_u64_u32 v[16:17], s[52:53], v16, s23, v[8:9]
	v_mov_b32_e32 v17, v28
	v_lshlrev_b64 v[16:17], 3, v[16:17]
	v_mov_b32_e32 v11, s13
	v_add_co_u32_e32 v16, vcc, s12, v16
	v_addc_co_u32_e32 v17, vcc, v11, v17, vcc
	global_load_dwordx2 v[32:33], v[16:17], off
	s_waitcnt vmcnt(0)
	v_add_f64 v[14:15], v[32:33], -v[14:15]
	global_store_dwordx2 v[16:17], v[14:15], off
	s_branch .LBB9_41
.LBB9_59:
	s_ashr_i32 s31, s30, 31
	s_lshl_b64 s[0:1], s[30:31], 2
	s_add_u32 s0, s10, s0
	s_addc_u32 s1, s11, s1
	v_mov_b32_e32 v6, 0
	global_load_dword v6, v6, s[0:1]
	s_waitcnt vmcnt(0)
	v_subrev_u32_e32 v6, s24, v6
	v_cmp_ne_u32_e32 vcc, s22, v6
	s_cbranch_vccnz .LBB9_85
; %bb.60:
	v_and_b32_e32 v10, 0x3ff, v0
	v_bfe_u32 v11, v0, 10, 10
	v_max_u32_e32 v6, v10, v11
	v_cmp_gt_u32_e64 s[0:1], s23, v6
	v_pk_mov_b32 v[6:7], 0, 0
	s_and_saveexec_b64 s[2:3], s[0:1]
	s_cbranch_execz .LBB9_62
; %bb.61:
	s_cmp_eq_u32 s34, 0
	s_cselect_b64 vcc, -1, 0
	s_mul_i32 s4, s30, s23
	v_cndmask_b32_e32 v7, v11, v10, vcc
	v_cndmask_b32_e32 v6, v10, v11, vcc
	v_add_u32_e32 v7, s4, v7
	v_mad_u64_u32 v[6:7], s[4:5], v7, s23, v[6:7]
	v_mov_b32_e32 v7, 0
	v_lshlrev_b64 v[6:7], 3, v[6:7]
	v_mov_b32_e32 v8, s13
	v_add_co_u32_e32 v6, vcc, s12, v6
	v_addc_co_u32_e32 v7, vcc, v8, v7, vcc
	global_load_dwordx2 v[6:7], v[6:7], off
.LBB9_62:
	s_or_b64 exec, exec, s[2:3]
	v_lshlrev_b32_e32 v8, 3, v10
	s_movk_i32 s2, 0x48
	v_mad_u32_u24 v12, v11, s2, v8
	s_cmp_lt_i32 s23, 1
	s_waitcnt vmcnt(0)
	ds_write_b64 v12, v[6:7]
	s_waitcnt lgkmcnt(0)
	s_cbranch_scc1 .LBB9_82
; %bb.63:
	s_cmp_eq_u64 s[16:17], 8
	v_cvt_f64_f32_e32 v[6:7], v1
	s_cselect_b64 vcc, -1, 0
	v_or_b32_e32 v1, v10, v11
	v_cndmask_b32_e32 v4, v6, v4, vcc
	v_cmp_eq_u32_e64 s[2:3], 0, v1
	v_mul_u32_u24_e32 v1, 9, v11
	v_cndmask_b32_e64 v6, 0, 1, s[36:37]
	v_cndmask_b32_e32 v5, v7, v5, vcc
	s_mov_b32 s14, 0
	v_cmp_eq_u32_e64 s[4:5], 0, v11
	v_cmp_ne_u32_e64 s[6:7], 1, v6
	v_lshlrev_b32_e32 v1, 3, v1
.LBB9_64:                               ; =>This Inner Loop Header: Depth=1
	s_lshl_b32 s8, s14, 3
	s_mul_i32 s15, s14, 0x48
	s_add_i32 s15, s15, s8
	v_mov_b32_e32 v6, s15
	s_waitcnt lgkmcnt(0)
	ds_read_b64 v[8:9], v6
	s_and_b64 vcc, exec, s[6:7]
	s_cbranch_vccnz .LBB9_68
; %bb.65:                               ;   in Loop: Header=BB9_64 Depth=1
	s_waitcnt lgkmcnt(0)
	v_xor_b32_e32 v6, 0x80000000, v9
	v_cmp_gt_f64_e32 vcc, 0, v[8:9]
	v_cndmask_b32_e32 v7, v9, v6, vcc
	v_cndmask_b32_e32 v6, v8, v8, vcc
	v_cmp_le_f64_e32 vcc, v[6:7], v[4:5]
	v_cndmask_b32_e32 v7, v9, v3, vcc
	v_cndmask_b32_e32 v6, v8, v2, vcc
	s_and_saveexec_b64 s[8:9], s[2:3]
	s_cbranch_execz .LBB9_67
; %bb.66:                               ;   in Loop: Header=BB9_64 Depth=1
	v_mov_b32_e32 v13, s15
	ds_write_b64 v13, v[6:7]
.LBB9_67:                               ;   in Loop: Header=BB9_64 Depth=1
	s_or_b64 exec, exec, s[8:9]
	s_mov_b64 s[10:11], -1
	s_mov_b64 s[8:9], 0
	s_cbranch_execz .LBB9_69
	s_branch .LBB9_70
.LBB9_68:                               ;   in Loop: Header=BB9_64 Depth=1
	s_mov_b64 s[10:11], 0
                                        ; implicit-def: $vgpr6_vgpr7
	s_mov_b64 s[8:9], 0
.LBB9_69:                               ;   in Loop: Header=BB9_64 Depth=1
	s_waitcnt lgkmcnt(0)
	v_cmp_neq_f64_e64 s[10:11], 0, v[8:9]
	s_mov_b64 s[8:9], -1
	v_pk_mov_b32 v[6:7], v[8:9], v[8:9] op_sel:[0,1]
.LBB9_70:                               ;   in Loop: Header=BB9_64 Depth=1
	s_andn2_b64 vcc, exec, s[10:11]
                                        ; implicit-def: $sgpr16
	s_cbranch_vccz .LBB9_73
; %bb.71:                               ;   in Loop: Header=BB9_64 Depth=1
	s_andn2_b64 vcc, exec, s[8:9]
	s_cbranch_vccz .LBB9_79
.LBB9_72:                               ;   in Loop: Header=BB9_64 Depth=1
	s_cmp_eq_u32 s16, s23
	s_cbranch_scc0 .LBB9_80
	s_branch .LBB9_82
.LBB9_73:                               ;   in Loop: Header=BB9_64 Depth=1
	s_add_i32 s16, s14, 1
	s_waitcnt lgkmcnt(0)
	v_add_u32_e32 v8, s16, v10
	v_cmp_gt_i32_e32 vcc, s23, v8
	s_and_saveexec_b64 s[8:9], vcc
	s_cbranch_execz .LBB9_78
; %bb.74:                               ;   in Loop: Header=BB9_64 Depth=1
	v_lshl_add_u32 v8, v10, 3, s15
	ds_read_b64 v[14:15], v8 offset:8
	s_waitcnt lgkmcnt(0)
	v_div_scale_f64 v[16:17], s[10:11], v[6:7], v[6:7], v[14:15]
	v_rcp_f64_e32 v[18:19], v[16:17]
	v_div_scale_f64 v[20:21], vcc, v[14:15], v[6:7], v[14:15]
	v_fma_f64 v[22:23], -v[16:17], v[18:19], 1.0
	v_fmac_f64_e32 v[18:19], v[18:19], v[22:23]
	v_fma_f64 v[22:23], -v[16:17], v[18:19], 1.0
	v_fmac_f64_e32 v[18:19], v[18:19], v[22:23]
	v_mul_f64 v[22:23], v[20:21], v[18:19]
	v_fma_f64 v[16:17], -v[16:17], v[22:23], v[20:21]
	v_div_fmas_f64 v[16:17], v[16:17], v[18:19], v[22:23]
	v_div_fixup_f64 v[6:7], v[16:17], v[6:7], v[14:15]
	s_and_saveexec_b64 s[10:11], s[4:5]
	s_cbranch_execz .LBB9_76
; %bb.75:                               ;   in Loop: Header=BB9_64 Depth=1
	ds_write_b64 v8, v[6:7] offset:8
.LBB9_76:                               ;   in Loop: Header=BB9_64 Depth=1
	s_or_b64 exec, exec, s[10:11]
	v_add_u32_e32 v9, s16, v11
	v_cmp_gt_i32_e32 vcc, s23, v9
	s_and_b64 exec, exec, vcc
	s_cbranch_execz .LBB9_78
; %bb.77:                               ;   in Loop: Header=BB9_64 Depth=1
	v_add_u32_e32 v9, s15, v1
	v_add_u32_e32 v13, v8, v1
	ds_read_b64 v[8:9], v9 offset:72
	ds_read_b64 v[14:15], v13 offset:80
	s_waitcnt lgkmcnt(0)
	v_fma_f64 v[6:7], -v[6:7], v[8:9], v[14:15]
	ds_write_b64 v13, v[6:7] offset:80
.LBB9_78:                               ;   in Loop: Header=BB9_64 Depth=1
	s_or_b64 exec, exec, s[8:9]
	s_cbranch_execnz .LBB9_72
.LBB9_79:                               ;   in Loop: Header=BB9_64 Depth=1
	s_add_i32 s16, s14, 1
	s_mov_b64 s[28:29], -1
	s_cmp_eq_u32 s16, s23
	s_cbranch_scc1 .LBB9_82
.LBB9_80:                               ;   in Loop: Header=BB9_64 Depth=1
	s_mov_b32 s14, s16
	s_branch .LBB9_64
.LBB9_81:
	s_mov_b64 s[28:29], -1
	s_branch .LBB9_117
.LBB9_82:
	s_waitcnt lgkmcnt(0)
	s_and_saveexec_b64 s[2:3], s[0:1]
	s_cbranch_execz .LBB9_84
; %bb.83:
	s_cmp_eq_u32 s34, 0
	s_cselect_b64 vcc, -1, 0
	s_mul_i32 s0, s30, s23
	v_cndmask_b32_e32 v1, v11, v10, vcc
	v_cndmask_b32_e32 v4, v10, v11, vcc
	v_add_u32_e32 v1, s0, v1
	ds_read_b64 v[2:3], v12
	v_mad_u64_u32 v[4:5], s[0:1], v1, s23, v[4:5]
	v_mov_b32_e32 v5, 0
	v_lshlrev_b64 v[4:5], 3, v[4:5]
	v_mov_b32_e32 v1, s13
	v_add_co_u32_e32 v4, vcc, s12, v4
	v_addc_co_u32_e32 v5, vcc, v1, v5, vcc
	s_waitcnt lgkmcnt(0)
	global_store_dwordx2 v[4:5], v[2:3], off
.LBB9_84:
	s_or_b64 exec, exec, s[2:3]
.LBB9_85:
	s_add_i32 s10, s30, 1
	s_cmp_ge_i32 s10, s25
	s_cbranch_scc1 .LBB9_117
; %bb.86:
	s_cmp_eq_u32 s34, 0
	s_cselect_b64 vcc, -1, 0
	s_cmp_gt_i32 s23, 0
	v_bfe_u32 v1, v0, 10, 10
	v_and_b32_e32 v4, 0x3ff, v0
	s_cselect_b64 s[2:3], -1, 0
	s_add_i32 s4, s23, -1
	s_and_b32 s11, s23, 7
	v_lshlrev_b32_e32 v2, 3, v4
	v_mul_u32_u24_e32 v3, 0x48, v1
	s_movk_i32 s0, 0x240
	s_cmp_gt_u32 s4, 6
	s_movk_i32 s6, 0x48
	v_add3_u32 v3, v3, v2, s0
	v_max_u32_e32 v2, v4, v1
	s_cselect_b64 s[4:5], -1, 0
	s_and_b32 s14, s23, 0x7ffffff8
	v_mov_b32_e32 v8, 0x240
	v_cmp_gt_u32_e64 s[0:1], s23, v2
	v_cndmask_b32_e32 v6, v1, v4, vcc
	v_cndmask_b32_e32 v2, v4, v1, vcc
	s_cmp_lg_u32 s11, 0
	v_lshlrev_b32_e32 v7, 3, v1
	v_mul_u32_u24_e32 v5, 0x48, v4
	v_mad_u32_u24 v8, v4, s6, v8
	s_movk_i32 s6, 0x248
	v_cndmask_b32_e64 v4, 0, 1, s[2:3]
	v_add3_u32 v10, v5, v7, s6
	v_cmp_ne_u32_e64 s[2:3], 1, v4
	v_cndmask_b32_e64 v4, 0, 1, s[4:5]
	s_cselect_b64 s[6:7], -1, 0
	v_cmp_ne_u32_e64 s[4:5], 1, v4
	v_cndmask_b32_e64 v4, 0, 1, s[6:7]
	v_add_u32_e32 v9, 8, v7
	v_mov_b32_e32 v11, 0
	v_cmp_ne_u32_e64 s[6:7], 1, v4
	s_branch .LBB9_88
.LBB9_87:                               ;   in Loop: Header=BB9_88 Depth=1
	s_or_b64 exec, exec, s[8:9]
	s_add_i32 s10, s10, 1
	s_cmp_lt_i32 s10, s25
	s_cbranch_scc0 .LBB9_117
.LBB9_88:                               ; =>This Loop Header: Depth=1
                                        ;     Child Loop BB9_94 Depth 2
                                        ;     Child Loop BB9_113 Depth 2
	s_mul_i32 s8, s10, s23
	v_pk_mov_b32 v[4:5], 0, 0
	v_add_u32_e32 v12, s8, v6
	s_waitcnt lgkmcnt(0)
	s_and_saveexec_b64 s[8:9], s[0:1]
	s_cbranch_execz .LBB9_90
; %bb.89:                               ;   in Loop: Header=BB9_88 Depth=1
	v_mad_u64_u32 v[4:5], s[16:17], v12, s23, v[2:3]
	v_mov_b32_e32 v5, v11
	v_lshlrev_b64 v[4:5], 3, v[4:5]
	v_mov_b32_e32 v13, s13
	v_add_co_u32_e32 v4, vcc, s12, v4
	v_addc_co_u32_e32 v5, vcc, v13, v5, vcc
	global_load_dwordx2 v[4:5], v[4:5], off
.LBB9_90:                               ;   in Loop: Header=BB9_88 Depth=1
	s_or_b64 exec, exec, s[8:9]
	s_and_b64 vcc, exec, s[2:3]
	s_waitcnt vmcnt(0)
	ds_write_b64 v3, v[4:5]
	s_waitcnt lgkmcnt(0)
	s_cbranch_vccnz .LBB9_115
; %bb.91:                               ;   in Loop: Header=BB9_88 Depth=1
	s_and_b64 vcc, exec, s[4:5]
	s_mov_b32 s8, 0
	s_cbranch_vccnz .LBB9_110
; %bb.92:                               ;   in Loop: Header=BB9_88 Depth=1
	s_mov_b32 s15, 0
	s_mov_b32 s16, 8
	v_mov_b32_e32 v4, v8
	s_branch .LBB9_94
.LBB9_93:                               ;   in Loop: Header=BB9_94 Depth=2
	s_or_b64 exec, exec, s[8:9]
	s_add_i32 s15, s15, 8
	s_addk_i32 s16, 0x280
	v_add_u32_e32 v4, 64, v4
	s_cmp_eq_u32 s14, s15
	s_mov_b32 s8, s14
	s_cbranch_scc1 .LBB9_110
.LBB9_94:                               ;   Parent Loop BB9_88 Depth=1
                                        ; =>  This Inner Loop Header: Depth=2
	v_add_u32_e32 v14, s15, v1
	v_add_u32_e32 v5, 1, v14
	v_cmp_gt_i32_e32 vcc, s23, v5
	v_add_u32_e32 v13, s16, v7
	v_add_u32_e32 v5, v4, v7
	s_and_saveexec_b64 s[8:9], vcc
	s_cbranch_execz .LBB9_96
; %bb.95:                               ;   in Loop: Header=BB9_94 Depth=2
	ds_read_b64 v[16:17], v13
	ds_read_b64 v[18:19], v4
	ds_read_b64 v[20:21], v5 offset:8
	s_waitcnt lgkmcnt(0)
	v_fma_f64 v[16:17], -v[16:17], v[18:19], v[20:21]
	ds_write_b64 v5, v[16:17] offset:8
.LBB9_96:                               ;   in Loop: Header=BB9_94 Depth=2
	s_or_b64 exec, exec, s[8:9]
	v_add_u32_e32 v15, 2, v14
	v_cmp_gt_i32_e32 vcc, s23, v15
	s_and_saveexec_b64 s[8:9], vcc
	s_cbranch_execz .LBB9_98
; %bb.97:                               ;   in Loop: Header=BB9_94 Depth=2
	ds_read_b64 v[16:17], v13 offset:80
	ds_read_b64 v[18:19], v4 offset:8
	;; [unrolled: 1-line block ×3, first 2 shown]
	s_waitcnt lgkmcnt(0)
	v_fma_f64 v[16:17], -v[16:17], v[18:19], v[20:21]
	ds_write_b64 v5, v[16:17] offset:16
.LBB9_98:                               ;   in Loop: Header=BB9_94 Depth=2
	s_or_b64 exec, exec, s[8:9]
	v_add_u32_e32 v15, 3, v14
	v_cmp_gt_i32_e32 vcc, s23, v15
	s_and_saveexec_b64 s[8:9], vcc
	s_cbranch_execz .LBB9_100
; %bb.99:                               ;   in Loop: Header=BB9_94 Depth=2
	ds_read_b64 v[16:17], v13 offset:160
	ds_read_b64 v[18:19], v4 offset:16
	;; [unrolled: 1-line block ×3, first 2 shown]
	s_waitcnt lgkmcnt(0)
	v_fma_f64 v[16:17], -v[16:17], v[18:19], v[20:21]
	ds_write_b64 v5, v[16:17] offset:24
.LBB9_100:                              ;   in Loop: Header=BB9_94 Depth=2
	s_or_b64 exec, exec, s[8:9]
	v_add_u32_e32 v15, 4, v14
	v_cmp_gt_i32_e32 vcc, s23, v15
	s_and_saveexec_b64 s[8:9], vcc
	s_cbranch_execz .LBB9_102
; %bb.101:                              ;   in Loop: Header=BB9_94 Depth=2
	ds_read_b64 v[16:17], v13 offset:240
	ds_read_b64 v[18:19], v4 offset:24
	ds_read_b64 v[20:21], v5 offset:32
	s_waitcnt lgkmcnt(0)
	v_fma_f64 v[16:17], -v[16:17], v[18:19], v[20:21]
	ds_write_b64 v5, v[16:17] offset:32
.LBB9_102:                              ;   in Loop: Header=BB9_94 Depth=2
	s_or_b64 exec, exec, s[8:9]
	v_add_u32_e32 v15, 5, v14
	v_cmp_gt_i32_e32 vcc, s23, v15
	s_and_saveexec_b64 s[8:9], vcc
	s_cbranch_execz .LBB9_104
; %bb.103:                              ;   in Loop: Header=BB9_94 Depth=2
	ds_read_b64 v[16:17], v13 offset:320
	ds_read_b64 v[18:19], v4 offset:32
	ds_read_b64 v[20:21], v5 offset:40
	s_waitcnt lgkmcnt(0)
	v_fma_f64 v[16:17], -v[16:17], v[18:19], v[20:21]
	ds_write_b64 v5, v[16:17] offset:40
.LBB9_104:                              ;   in Loop: Header=BB9_94 Depth=2
	;; [unrolled: 13-line block ×4, first 2 shown]
	s_or_b64 exec, exec, s[8:9]
	v_add_u32_e32 v14, 8, v14
	v_cmp_gt_i32_e32 vcc, s23, v14
	s_and_saveexec_b64 s[8:9], vcc
	s_cbranch_execz .LBB9_93
; %bb.109:                              ;   in Loop: Header=BB9_94 Depth=2
	ds_read_b64 v[14:15], v13 offset:560
	ds_read_b64 v[16:17], v4 offset:56
	;; [unrolled: 1-line block ×3, first 2 shown]
	s_waitcnt lgkmcnt(0)
	v_fma_f64 v[14:15], -v[14:15], v[16:17], v[18:19]
	ds_write_b64 v5, v[14:15] offset:64
	s_branch .LBB9_93
.LBB9_110:                              ;   in Loop: Header=BB9_88 Depth=1
	s_and_b64 vcc, exec, s[6:7]
	s_cbranch_vccnz .LBB9_115
; %bb.111:                              ;   in Loop: Header=BB9_88 Depth=1
	s_mul_i32 s9, s8, 0x50
	v_add_u32_e32 v5, s8, v1
	s_lshl_b32 s8, s8, 3
	v_add_u32_e32 v4, s9, v9
	v_add_u32_e32 v13, s8, v10
	v_add_u32_e32 v14, s8, v8
	s_mov_b32 s15, s11
	s_branch .LBB9_113
.LBB9_112:                              ;   in Loop: Header=BB9_113 Depth=2
	s_or_b64 exec, exec, s[8:9]
	s_add_i32 s15, s15, -1
	v_add_u32_e32 v4, 0x50, v4
	v_add_u32_e32 v13, 8, v13
	s_cmp_lg_u32 s15, 0
	v_add_u32_e32 v14, 8, v14
	s_cbranch_scc0 .LBB9_115
.LBB9_113:                              ;   Parent Loop BB9_88 Depth=1
                                        ; =>  This Inner Loop Header: Depth=2
	v_add_u32_e32 v5, 1, v5
	v_cmp_gt_i32_e32 vcc, s23, v5
	s_and_saveexec_b64 s[8:9], vcc
	s_cbranch_execz .LBB9_112
; %bb.114:                              ;   in Loop: Header=BB9_113 Depth=2
	ds_read_b64 v[16:17], v14
	ds_read_b64 v[18:19], v4
	;; [unrolled: 1-line block ×3, first 2 shown]
	s_waitcnt lgkmcnt(0)
	v_fma_f64 v[16:17], -v[18:19], v[16:17], v[20:21]
	ds_write_b64 v13, v[16:17]
	s_branch .LBB9_112
.LBB9_115:                              ;   in Loop: Header=BB9_88 Depth=1
	s_waitcnt lgkmcnt(0)
	s_and_saveexec_b64 s[8:9], s[0:1]
	s_cbranch_execz .LBB9_87
; %bb.116:                              ;   in Loop: Header=BB9_88 Depth=1
	ds_read_b64 v[4:5], v3
	v_mad_u64_u32 v[12:13], s[16:17], v12, s23, v[2:3]
	v_mov_b32_e32 v13, v11
	v_lshlrev_b64 v[12:13], 3, v[12:13]
	v_mov_b32_e32 v14, s13
	v_add_co_u32_e32 v12, vcc, s12, v12
	v_addc_co_u32_e32 v13, vcc, v14, v13, vcc
	s_waitcnt lgkmcnt(0)
	global_store_dwordx2 v[12:13], v[4:5], off
	s_branch .LBB9_87
.LBB9_117:
	v_and_b32_e32 v1, 0x3ff, v0
	v_bfe_u32 v0, v0, 10, 10
	v_or_b32_e32 v0, v1, v0
	v_cmp_eq_u32_e32 vcc, 0, v0
	s_and_saveexec_b64 s[0:1], vcc
	s_cbranch_execz .LBB9_121
; %bb.118:
	s_add_u32 s0, s20, s26
	s_addc_u32 s1, s21, s27
	v_mov_b32_e32 v0, 0
	v_mov_b32_e32 v1, 1
	s_andn2_b64 vcc, exec, s[28:29]
	s_waitcnt vmcnt(0)
	global_store_dword v0, v1, s[0:1]
	s_cbranch_vccnz .LBB9_121
; %bb.119:
	v_mbcnt_lo_u32_b32 v0, exec_lo, 0
	v_mbcnt_hi_u32_b32 v0, exec_hi, v0
	v_cmp_eq_u32_e32 vcc, 0, v0
	s_and_b64 exec, exec, vcc
	s_cbranch_execz .LBB9_121
; %bb.120:
	s_add_i32 s0, s22, s24
	v_mov_b32_e32 v0, 0
	v_mov_b32_e32 v1, s0
	global_atomic_smin v0, v1, s[18:19]
.LBB9_121:
	s_endpgm
	.section	.rodata,"a",@progbits
	.p2align	6, 0x0
	.amdhsa_kernel _ZN9rocsparseL11bsrilu0_2_8ILj64ELj64ELj8EdEEv20rocsparse_direction_iPKiS3_PT2_S3_iPiS3_S6_21rocsparse_index_base_imNS_24const_host_device_scalarIfEENS8_IdEENS8_IS4_EEb
		.amdhsa_group_segment_fixed_size 1152
		.amdhsa_private_segment_fixed_size 0
		.amdhsa_kernarg_size 376
		.amdhsa_user_sgpr_count 6
		.amdhsa_user_sgpr_private_segment_buffer 1
		.amdhsa_user_sgpr_dispatch_ptr 0
		.amdhsa_user_sgpr_queue_ptr 0
		.amdhsa_user_sgpr_kernarg_segment_ptr 1
		.amdhsa_user_sgpr_dispatch_id 0
		.amdhsa_user_sgpr_flat_scratch_init 0
		.amdhsa_user_sgpr_kernarg_preload_length 0
		.amdhsa_user_sgpr_kernarg_preload_offset 0
		.amdhsa_user_sgpr_private_segment_size 0
		.amdhsa_uses_dynamic_stack 0
		.amdhsa_system_sgpr_private_segment_wavefront_offset 0
		.amdhsa_system_sgpr_workgroup_id_x 1
		.amdhsa_system_sgpr_workgroup_id_y 0
		.amdhsa_system_sgpr_workgroup_id_z 0
		.amdhsa_system_sgpr_workgroup_info 0
		.amdhsa_system_vgpr_workitem_id 1
		.amdhsa_next_free_vgpr 42
		.amdhsa_next_free_sgpr 60
		.amdhsa_accum_offset 44
		.amdhsa_reserve_vcc 1
		.amdhsa_reserve_flat_scratch 0
		.amdhsa_float_round_mode_32 0
		.amdhsa_float_round_mode_16_64 0
		.amdhsa_float_denorm_mode_32 3
		.amdhsa_float_denorm_mode_16_64 3
		.amdhsa_dx10_clamp 1
		.amdhsa_ieee_mode 1
		.amdhsa_fp16_overflow 0
		.amdhsa_tg_split 0
		.amdhsa_exception_fp_ieee_invalid_op 0
		.amdhsa_exception_fp_denorm_src 0
		.amdhsa_exception_fp_ieee_div_zero 0
		.amdhsa_exception_fp_ieee_overflow 0
		.amdhsa_exception_fp_ieee_underflow 0
		.amdhsa_exception_fp_ieee_inexact 0
		.amdhsa_exception_int_div_zero 0
	.end_amdhsa_kernel
	.section	.text._ZN9rocsparseL11bsrilu0_2_8ILj64ELj64ELj8EdEEv20rocsparse_direction_iPKiS3_PT2_S3_iPiS3_S6_21rocsparse_index_base_imNS_24const_host_device_scalarIfEENS8_IdEENS8_IS4_EEb,"axG",@progbits,_ZN9rocsparseL11bsrilu0_2_8ILj64ELj64ELj8EdEEv20rocsparse_direction_iPKiS3_PT2_S3_iPiS3_S6_21rocsparse_index_base_imNS_24const_host_device_scalarIfEENS8_IdEENS8_IS4_EEb,comdat
.Lfunc_end9:
	.size	_ZN9rocsparseL11bsrilu0_2_8ILj64ELj64ELj8EdEEv20rocsparse_direction_iPKiS3_PT2_S3_iPiS3_S6_21rocsparse_index_base_imNS_24const_host_device_scalarIfEENS8_IdEENS8_IS4_EEb, .Lfunc_end9-_ZN9rocsparseL11bsrilu0_2_8ILj64ELj64ELj8EdEEv20rocsparse_direction_iPKiS3_PT2_S3_iPiS3_S6_21rocsparse_index_base_imNS_24const_host_device_scalarIfEENS8_IdEENS8_IS4_EEb
                                        ; -- End function
	.section	.AMDGPU.csdata,"",@progbits
; Kernel info:
; codeLenInByte = 4308
; NumSgprs: 64
; NumVgprs: 42
; NumAgprs: 0
; TotalNumVgprs: 42
; ScratchSize: 0
; MemoryBound: 0
; FloatMode: 240
; IeeeMode: 1
; LDSByteSize: 1152 bytes/workgroup (compile time only)
; SGPRBlocks: 7
; VGPRBlocks: 5
; NumSGPRsForWavesPerEU: 64
; NumVGPRsForWavesPerEU: 42
; AccumOffset: 44
; Occupancy: 8
; WaveLimiterHint : 1
; COMPUTE_PGM_RSRC2:SCRATCH_EN: 0
; COMPUTE_PGM_RSRC2:USER_SGPR: 6
; COMPUTE_PGM_RSRC2:TRAP_HANDLER: 0
; COMPUTE_PGM_RSRC2:TGID_X_EN: 1
; COMPUTE_PGM_RSRC2:TGID_Y_EN: 0
; COMPUTE_PGM_RSRC2:TGID_Z_EN: 0
; COMPUTE_PGM_RSRC2:TIDIG_COMP_CNT: 1
; COMPUTE_PGM_RSRC3_GFX90A:ACCUM_OFFSET: 10
; COMPUTE_PGM_RSRC3_GFX90A:TG_SPLIT: 0
	.section	.text._ZN9rocsparseL12bsrilu0_9_32ILj64ELj64ELj16EdEEv20rocsparse_direction_iPKiS3_PT2_S3_iPiS3_S6_21rocsparse_index_base_imNS_24const_host_device_scalarIfEENS8_IdEENS8_IS4_EEb,"axG",@progbits,_ZN9rocsparseL12bsrilu0_9_32ILj64ELj64ELj16EdEEv20rocsparse_direction_iPKiS3_PT2_S3_iPiS3_S6_21rocsparse_index_base_imNS_24const_host_device_scalarIfEENS8_IdEENS8_IS4_EEb,comdat
	.globl	_ZN9rocsparseL12bsrilu0_9_32ILj64ELj64ELj16EdEEv20rocsparse_direction_iPKiS3_PT2_S3_iPiS3_S6_21rocsparse_index_base_imNS_24const_host_device_scalarIfEENS8_IdEENS8_IS4_EEb ; -- Begin function _ZN9rocsparseL12bsrilu0_9_32ILj64ELj64ELj16EdEEv20rocsparse_direction_iPKiS3_PT2_S3_iPiS3_S6_21rocsparse_index_base_imNS_24const_host_device_scalarIfEENS8_IdEENS8_IS4_EEb
	.p2align	8
	.type	_ZN9rocsparseL12bsrilu0_9_32ILj64ELj64ELj16EdEEv20rocsparse_direction_iPKiS3_PT2_S3_iPiS3_S6_21rocsparse_index_base_imNS_24const_host_device_scalarIfEENS8_IdEENS8_IS4_EEb,@function
_ZN9rocsparseL12bsrilu0_9_32ILj64ELj64ELj16EdEEv20rocsparse_direction_iPKiS3_PT2_S3_iPiS3_S6_21rocsparse_index_base_imNS_24const_host_device_scalarIfEENS8_IdEENS8_IS4_EEb: ; @_ZN9rocsparseL12bsrilu0_9_32ILj64ELj64ELj16EdEEv20rocsparse_direction_iPKiS3_PT2_S3_iPiS3_S6_21rocsparse_index_base_imNS_24const_host_device_scalarIfEENS8_IdEENS8_IS4_EEb
; %bb.0:
	s_load_dword s0, s[4:5], 0x70
	s_load_dwordx2 s[28:29], s[4:5], 0x48
	s_load_dwordx8 s[20:27], s[4:5], 0x50
	s_waitcnt lgkmcnt(0)
	s_bitcmp1_b32 s0, 0
	s_cselect_b64 s[0:1], -1, 0
	s_cmp_lg_u32 s29, 0
	s_cselect_b64 s[40:41], -1, 0
	s_cmp_eq_u32 s29, 0
	s_cselect_b64 s[2:3], -1, 0
	s_and_b64 s[8:9], s[2:3], exec
	s_cselect_b32 s10, 0, s24
	s_cselect_b32 s11, 0, s25
	s_or_b64 s[0:1], s[2:3], s[0:1]
	s_xor_b64 s[8:9], s[0:1], -1
	s_and_b64 vcc, exec, s[0:1]
	s_cbranch_vccnz .LBB10_2
; %bb.1:
	s_load_dword s0, s[22:23], 0x0
	s_mov_b64 s[10:11], s[24:25]
	s_waitcnt lgkmcnt(0)
	v_mov_b32_e32 v1, s0
	s_branch .LBB10_3
.LBB10_2:
	v_mov_b32_e32 v1, s22
	v_cndmask_b32_e64 v1, v1, 0, s[2:3]
.LBB10_3:
	v_cndmask_b32_e64 v2, 0, 1, s[8:9]
	v_cmp_ne_u32_e64 s[0:1], 1, v2
	s_andn2_b64 vcc, exec, s[8:9]
	v_pk_mov_b32 v[4:5], s[10:11], s[10:11] op_sel:[0,1]
	s_cbranch_vccnz .LBB10_5
; %bb.4:
	v_pk_mov_b32 v[2:3], s[24:25], s[24:25] op_sel:[0,1]
	flat_load_dwordx2 v[4:5], v[2:3]
.LBB10_5:
	s_and_b64 s[2:3], s[2:3], exec
	s_cselect_b32 s3, 0, s27
	s_cselect_b32 s2, 0, s26
	s_mov_b32 s7, 0
	s_and_b64 vcc, exec, s[0:1]
	v_pk_mov_b32 v[2:3], s[2:3], s[2:3] op_sel:[0,1]
	s_cbranch_vccnz .LBB10_7
; %bb.6:
	v_pk_mov_b32 v[2:3], s[26:27], s[26:27] op_sel:[0,1]
	flat_load_dwordx2 v[2:3], v[2:3]
.LBB10_7:
	s_load_dwordx4 s[24:27], s[4:5], 0x30
	s_load_dwordx2 s[22:23], s[4:5], 0x40
	s_lshl_b64 s[0:1], s[6:7], 2
	s_waitcnt lgkmcnt(0)
	s_add_u32 s0, s26, s0
	s_addc_u32 s1, s27, s1
	s_load_dword s26, s[0:1], 0x0
	s_load_dwordx8 s[12:19], s[4:5], 0x8
	s_waitcnt lgkmcnt(0)
	s_ashr_i32 s27, s26, 31
	s_lshl_b64 s[30:31], s[26:27], 2
	s_add_u32 s0, s18, s30
	s_addc_u32 s1, s19, s31
	s_load_dword s36, s[0:1], 0x0
	s_waitcnt lgkmcnt(0)
	s_cmp_eq_u32 s36, -1
	s_cbranch_scc1 .LBB10_123
; %bb.8:
	s_add_u32 s0, s12, s30
	s_addc_u32 s1, s13, s31
	s_load_dwordx2 s[2:3], s[0:1], 0x0
	s_load_dwordx2 s[38:39], s[4:5], 0x0
	s_load_dword s27, s[4:5], 0x28
	s_mov_b64 s[34:35], 0
	s_waitcnt lgkmcnt(0)
	s_sub_i32 s42, s2, s28
	s_sub_i32 s29, s3, s28
	s_cmp_ge_i32 s42, s36
	s_cbranch_scc1 .LBB10_112
; %bb.9:
	s_cmp_lg_u32 s38, 0
	s_cselect_b64 s[44:45], -1, 0
	s_cmp_gt_i32 s27, 0
	v_bfe_u32 v18, v0, 10, 10
	s_cselect_b64 s[46:47], -1, 0
	s_add_i32 s33, s39, 1
	v_and_b32_e32 v11, 0x3ff, v0
	v_lshlrev_b32_e32 v6, 4, v18
	s_cmp_lg_u32 s27, 1
	v_add3_u32 v6, v6, v11, s42
	s_cselect_b64 s[48:49], -1, 0
	s_and_b32 s37, s27, 0x7ffffffe
	v_ashrrev_i32_e32 v7, 31, v6
	s_bitcmp1_b32 s27, 0
	v_lshlrev_b64 v[8:9], 2, v[6:7]
	s_cselect_b64 s[50:51], -1, 0
	s_add_u32 s39, s12, 4
	v_mov_b32_e32 v7, s15
	v_add_co_u32_e32 v8, vcc, s14, v8
	s_addc_u32 s62, s13, 0
	s_mul_i32 s10, s27, s42
	s_movk_i32 s67, 0x88
	v_lshlrev_b32_e32 v12, 3, v11
	v_mov_b32_e32 v10, 0x118
	v_addc_co_u32_e32 v9, vcc, v7, v9, vcc
	s_add_u32 s63, s14, 0x100
	v_add_u32_e32 v7, s10, v11
	v_mad_u32_u24 v21, v18, s67, v12
	v_mad_u32_u24 v25, v18, s67, v10
	v_add_u32_e32 v10, 0x908, v12
	v_add_u32_e32 v27, 0x880, v12
	v_mbcnt_lo_u32_b32 v12, -1, 0
	v_cmp_gt_i32_e64 s[0:1], s27, v11
	v_cmp_le_i32_e64 s[2:3], s27, v11
	v_cmp_gt_i32_e64 s[4:5], s27, v18
	v_cmp_eq_u32_e64 s[6:7], 0, v18
	v_add_u32_e32 v19, 1, v18
	v_cmp_gt_i32_e64 s[8:9], s29, v6
	s_addc_u32 s64, s15, 0
	v_mul_lo_u32 v7, s27, v7
	s_mul_i32 s65, s27, s27
	s_lshl_b32 s66, s27, 4
	v_mul_u32_u24_e32 v20, 0x88, v18
	v_add_u32_e32 v22, 0x880, v21
	v_add_u32_e32 v23, 0x908, v21
	v_mad_u32_u24 v24, v18, s67, s67
	v_add_u32_e32 v26, 0x990, v21
	v_mov_b32_e32 v28, 0
	v_mbcnt_hi_u32_b32 v29, -1, v12
	s_branch .LBB10_12
.LBB10_10:                              ;   in Loop: Header=BB10_12 Depth=1
	s_mov_b64 s[34:35], -1
.LBB10_11:                              ;   in Loop: Header=BB10_12 Depth=1
	s_add_i32 s42, s42, 1
	s_cmp_lt_i32 s42, s36
	s_cselect_b64 s[10:11], -1, 0
	s_and_b64 s[10:11], s[12:13], s[10:11]
	v_add_u32_e32 v7, s65, v7
	s_and_b64 vcc, exec, s[10:11]
	s_cbranch_vccz .LBB10_112
.LBB10_12:                              ; =>This Loop Header: Depth=1
                                        ;     Child Loop BB10_15 Depth 2
                                        ;       Child Loop BB10_18 Depth 3
                                        ;     Child Loop BB10_24 Depth 2
                                        ;     Child Loop BB10_28 Depth 2
                                        ;       Child Loop BB10_31 Depth 3
                                        ;     Child Loop BB10_39 Depth 2
                                        ;       Child Loop BB10_42 Depth 3
                                        ;         Child Loop BB10_46 Depth 4
                                        ;       Child Loop BB10_50 Depth 3
                                        ;         Child Loop BB10_54 Depth 4
                                        ;     Child Loop BB10_59 Depth 2
                                        ;       Child Loop BB10_63 Depth 3
                                        ;     Child Loop BB10_68 Depth 2
                                        ;       Child Loop BB10_71 Depth 3
	;; [unrolled: 2-line block ×3, first 2 shown]
                                        ;       Child Loop BB10_94 Depth 3
                                        ;         Child Loop BB10_97 Depth 4
                                        ;       Child Loop BB10_103 Depth 3
                                        ;         Child Loop BB10_106 Depth 4
                                        ;           Child Loop BB10_107 Depth 5
	s_ashr_i32 s43, s42, 31
	s_lshl_b64 s[10:11], s[42:43], 2
	s_add_u32 s10, s14, s10
	s_addc_u32 s11, s15, s11
	global_load_dword v12, v28, s[10:11]
	s_waitcnt vmcnt(0)
	v_readfirstlane_b32 s43, v12
	s_and_saveexec_b64 s[10:11], s[0:1]
	s_cbranch_execz .LBB10_22
; %bb.13:                               ;   in Loop: Header=BB10_12 Depth=1
	s_mul_i32 s58, s42, s27
	s_mov_b64 s[12:13], 0
	v_mov_b32_e32 v13, v22
	v_mov_b32_e32 v16, v7
	v_mov_b32_e32 v12, v11
	s_branch .LBB10_15
.LBB10_14:                              ;   in Loop: Header=BB10_15 Depth=2
	s_or_b64 exec, exec, s[52:53]
	v_add_u32_e32 v12, 16, v12
	v_cmp_le_i32_e32 vcc, s27, v12
	v_add_u32_e32 v16, s66, v16
	s_or_b64 s[12:13], vcc, s[12:13]
	v_add_u32_e32 v13, 0x80, v13
	s_andn2_b64 exec, exec, s[12:13]
	s_cbranch_execz .LBB10_22
.LBB10_15:                              ;   Parent Loop BB10_12 Depth=1
                                        ; =>  This Loop Header: Depth=2
                                        ;       Child Loop BB10_18 Depth 3
	s_and_saveexec_b64 s[52:53], s[4:5]
	s_cbranch_execz .LBB10_14
; %bb.16:                               ;   in Loop: Header=BB10_15 Depth=2
	s_mov_b64 s[54:55], 0
	v_mov_b32_e32 v17, v13
	v_mov_b32_e32 v30, v18
	s_branch .LBB10_18
.LBB10_17:                              ;   in Loop: Header=BB10_18 Depth=3
	v_ashrrev_i32_e32 v15, 31, v14
	v_lshlrev_b64 v[14:15], 3, v[14:15]
	v_mov_b32_e32 v31, s17
	v_add_co_u32_e32 v14, vcc, s16, v14
	v_addc_co_u32_e32 v15, vcc, v31, v15, vcc
	global_load_dwordx2 v[14:15], v[14:15], off
	v_add_u32_e32 v30, 4, v30
	v_cmp_le_i32_e32 vcc, s27, v30
	s_or_b64 s[54:55], vcc, s[54:55]
	s_waitcnt vmcnt(0)
	ds_write_b64 v17, v[14:15]
	v_add_u32_e32 v17, 0x220, v17
	s_andn2_b64 exec, exec, s[54:55]
	s_cbranch_execz .LBB10_14
.LBB10_18:                              ;   Parent Loop BB10_12 Depth=1
                                        ;     Parent Loop BB10_15 Depth=2
                                        ; =>    This Inner Loop Header: Depth=3
	s_and_b64 vcc, exec, s[44:45]
	s_cbranch_vccz .LBB10_20
; %bb.19:                               ;   in Loop: Header=BB10_18 Depth=3
	v_add_u32_e32 v14, s58, v30
	v_mad_u64_u32 v[14:15], s[56:57], v14, s27, v[12:13]
	s_cbranch_execnz .LBB10_17
	s_branch .LBB10_21
.LBB10_20:                              ;   in Loop: Header=BB10_18 Depth=3
                                        ; implicit-def: $vgpr14
.LBB10_21:                              ;   in Loop: Header=BB10_18 Depth=3
	v_add_u32_e32 v14, v16, v30
	s_branch .LBB10_17
.LBB10_22:                              ;   in Loop: Header=BB10_12 Depth=1
	s_or_b64 exec, exec, s[10:11]
	s_sub_i32 s10, s43, s28
	s_ashr_i32 s11, s10, 31
	s_lshl_b64 s[10:11], s[10:11], 2
	s_add_u32 s12, s18, s10
	s_addc_u32 s13, s19, s11
	global_load_dword v12, v28, s[12:13]
	s_waitcnt vmcnt(0)
	v_readfirstlane_b32 s43, v12
	v_cmp_eq_u32_e32 vcc, -1, v12
	s_cmp_lg_u32 s43, -1
	s_cselect_b64 s[12:13], -1, 0
	s_cbranch_vccnz .LBB10_10
; %bb.23:                               ;   in Loop: Header=BB10_12 Depth=1
	s_add_u32 s52, s39, s10
	s_addc_u32 s53, s62, s11
	global_load_dword v12, v28, s[52:53]
	s_add_u32 s10, s24, s10
	s_addc_u32 s11, s25, s11
	s_waitcnt vmcnt(0)
	v_readfirstlane_b32 s60, v12
.LBB10_24:                              ;   Parent Loop BB10_12 Depth=1
                                        ; =>  This Inner Loop Header: Depth=2
	global_load_dword v12, v28, s[10:11] glc
	s_waitcnt vmcnt(0)
	v_cmp_eq_u32_e32 vcc, 0, v12
	s_cbranch_vccnz .LBB10_24
; %bb.25:                               ;   in Loop: Header=BB10_12 Depth=1
	s_waitcnt lgkmcnt(0)
	buffer_wbinvl1_vol
	s_and_saveexec_b64 s[10:11], s[0:1]
	s_cbranch_execz .LBB10_35
; %bb.26:                               ;   in Loop: Header=BB10_12 Depth=1
	s_mul_i32 s61, s43, s27
	v_add_u32_e32 v12, s61, v11
	v_mul_lo_u32 v13, s27, v12
	s_mov_b64 s[52:53], 0
	v_mov_b32_e32 v16, v21
	v_mov_b32_e32 v12, v11
	s_branch .LBB10_28
.LBB10_27:                              ;   in Loop: Header=BB10_28 Depth=2
	s_or_b64 exec, exec, s[54:55]
	v_add_u32_e32 v12, 16, v12
	v_cmp_le_i32_e32 vcc, s27, v12
	v_add_u32_e32 v13, s66, v13
	s_or_b64 s[52:53], vcc, s[52:53]
	v_add_u32_e32 v16, 0x80, v16
	s_andn2_b64 exec, exec, s[52:53]
	s_cbranch_execz .LBB10_35
.LBB10_28:                              ;   Parent Loop BB10_12 Depth=1
                                        ; =>  This Loop Header: Depth=2
                                        ;       Child Loop BB10_31 Depth 3
	s_and_saveexec_b64 s[54:55], s[4:5]
	s_cbranch_execz .LBB10_27
; %bb.29:                               ;   in Loop: Header=BB10_28 Depth=2
	s_mov_b64 s[56:57], 0
	v_mov_b32_e32 v17, v16
	v_mov_b32_e32 v30, v18
	s_branch .LBB10_31
.LBB10_30:                              ;   in Loop: Header=BB10_31 Depth=3
	v_ashrrev_i32_e32 v15, 31, v14
	v_lshlrev_b64 v[14:15], 3, v[14:15]
	v_mov_b32_e32 v31, s17
	v_add_co_u32_e32 v14, vcc, s16, v14
	v_addc_co_u32_e32 v15, vcc, v31, v15, vcc
	global_load_dwordx2 v[14:15], v[14:15], off
	v_add_u32_e32 v30, 4, v30
	v_cmp_le_i32_e32 vcc, s27, v30
	s_or_b64 s[56:57], vcc, s[56:57]
	s_waitcnt vmcnt(0)
	ds_write_b64 v17, v[14:15]
	v_add_u32_e32 v17, 0x220, v17
	s_andn2_b64 exec, exec, s[56:57]
	s_cbranch_execz .LBB10_27
.LBB10_31:                              ;   Parent Loop BB10_12 Depth=1
                                        ;     Parent Loop BB10_28 Depth=2
                                        ; =>    This Inner Loop Header: Depth=3
	s_and_b64 vcc, exec, s[44:45]
	s_cbranch_vccz .LBB10_33
; %bb.32:                               ;   in Loop: Header=BB10_31 Depth=3
	v_add_u32_e32 v14, s61, v30
	v_mad_u64_u32 v[14:15], s[58:59], v14, s27, v[12:13]
	s_cbranch_execnz .LBB10_30
	s_branch .LBB10_34
.LBB10_33:                              ;   in Loop: Header=BB10_31 Depth=3
                                        ; implicit-def: $vgpr14
.LBB10_34:                              ;   in Loop: Header=BB10_31 Depth=3
	v_add_u32_e32 v14, v13, v30
	s_branch .LBB10_30
.LBB10_35:                              ;   in Loop: Header=BB10_12 Depth=1
	s_or_b64 exec, exec, s[10:11]
	s_andn2_b64 vcc, exec, s[46:47]
	s_waitcnt lgkmcnt(0)
	s_cbranch_vccnz .LBB10_65
; %bb.36:                               ;   in Loop: Header=BB10_12 Depth=1
	s_andn2_b64 vcc, exec, s[48:49]
	s_mov_b32 s54, 0
	s_cbranch_vccnz .LBB10_55
; %bb.37:                               ;   in Loop: Header=BB10_12 Depth=1
	s_mov_b32 s61, 0
	v_mov_b32_e32 v16, v26
	v_mov_b32_e32 v17, v25
	v_mov_b32_e32 v30, v24
	v_mov_b32_e32 v31, v23
	s_branch .LBB10_39
.LBB10_38:                              ;   in Loop: Header=BB10_39 Depth=2
	s_or_b64 exec, exec, s[52:53]
	s_add_i32 s61, s61, 2
	v_add_u32_e32 v31, 0x110, v31
	v_add_u32_e32 v30, 0x120, v30
	;; [unrolled: 1-line block ×4, first 2 shown]
	s_cmp_eq_u32 s61, s37
	s_mov_b32 s54, s37
	s_waitcnt lgkmcnt(0)
	s_cbranch_scc1 .LBB10_55
.LBB10_39:                              ;   Parent Loop BB10_12 Depth=1
                                        ; =>  This Loop Header: Depth=2
                                        ;       Child Loop BB10_42 Depth 3
                                        ;         Child Loop BB10_46 Depth 4
                                        ;       Child Loop BB10_50 Depth 3
                                        ;         Child Loop BB10_54 Depth 4
	s_lshl_b32 s10, s61, 3
	s_mul_i32 s68, s61, 0x88
	s_add_i32 s69, s68, s10
	s_and_saveexec_b64 s[52:53], s[0:1]
	s_cbranch_execz .LBB10_47
; %bb.40:                               ;   in Loop: Header=BB10_39 Depth=2
	v_mov_b32_e32 v12, s69
	ds_read_b64 v[12:13], v12
	v_add_u32_e32 v32, s61, v19
	v_cmp_gt_i32_e64 s[10:11], s27, v32
	s_mov_b64 s[54:55], 0
	v_mov_b32_e32 v33, v31
	v_mov_b32_e32 v34, v11
	s_branch .LBB10_42
.LBB10_41:                              ;   in Loop: Header=BB10_42 Depth=3
	s_or_b64 exec, exec, s[56:57]
	v_add_u32_e32 v34, 16, v34
	v_cmp_le_i32_e32 vcc, s27, v34
	s_or_b64 s[54:55], vcc, s[54:55]
	v_add_u32_e32 v33, 0x80, v33
	s_andn2_b64 exec, exec, s[54:55]
	s_cbranch_execz .LBB10_47
.LBB10_42:                              ;   Parent Loop BB10_12 Depth=1
                                        ;     Parent Loop BB10_39 Depth=2
                                        ; =>    This Loop Header: Depth=3
                                        ;         Child Loop BB10_46 Depth 4
	v_lshl_add_u32 v35, v34, 3, s68
	ds_read_b64 v[14:15], v35 offset:2176
	s_waitcnt lgkmcnt(0)
	v_div_scale_f64 v[36:37], s[56:57], v[12:13], v[12:13], v[14:15]
	v_rcp_f64_e32 v[38:39], v[36:37]
	v_div_scale_f64 v[40:41], vcc, v[14:15], v[12:13], v[14:15]
	v_fma_f64 v[42:43], -v[36:37], v[38:39], 1.0
	v_fmac_f64_e32 v[38:39], v[38:39], v[42:43]
	v_fma_f64 v[42:43], -v[36:37], v[38:39], 1.0
	v_fmac_f64_e32 v[38:39], v[38:39], v[42:43]
	v_mul_f64 v[42:43], v[40:41], v[38:39]
	v_fma_f64 v[36:37], -v[36:37], v[42:43], v[40:41]
	v_div_fmas_f64 v[36:37], v[36:37], v[38:39], v[42:43]
	v_div_fixup_f64 v[14:15], v[36:37], v[12:13], v[14:15]
	s_and_saveexec_b64 s[56:57], s[6:7]
	s_cbranch_execz .LBB10_44
; %bb.43:                               ;   in Loop: Header=BB10_42 Depth=3
	v_add_u32_e32 v35, 0x880, v35
	ds_write_b64 v35, v[14:15]
.LBB10_44:                              ;   in Loop: Header=BB10_42 Depth=3
	s_or_b64 exec, exec, s[56:57]
	s_and_saveexec_b64 s[56:57], s[10:11]
	s_cbranch_execz .LBB10_41
; %bb.45:                               ;   in Loop: Header=BB10_42 Depth=3
	s_mov_b64 s[58:59], 0
	v_mov_b32_e32 v35, v30
	v_mov_b32_e32 v36, v33
	;; [unrolled: 1-line block ×3, first 2 shown]
.LBB10_46:                              ;   Parent Loop BB10_12 Depth=1
                                        ;     Parent Loop BB10_39 Depth=2
                                        ;       Parent Loop BB10_42 Depth=3
                                        ; =>      This Inner Loop Header: Depth=4
	ds_read_b64 v[38:39], v35
	ds_read_b64 v[40:41], v36
	v_add_u32_e32 v37, 4, v37
	v_cmp_le_i32_e32 vcc, s27, v37
	s_or_b64 s[58:59], vcc, s[58:59]
	v_add_u32_e32 v35, 0x220, v35
	s_waitcnt lgkmcnt(0)
	v_fma_f64 v[38:39], -v[14:15], v[38:39], v[40:41]
	ds_write_b64 v36, v[38:39]
	v_add_u32_e32 v36, 0x220, v36
	s_andn2_b64 exec, exec, s[58:59]
	s_cbranch_execnz .LBB10_46
	s_branch .LBB10_41
.LBB10_47:                              ;   in Loop: Header=BB10_39 Depth=2
	s_or_b64 exec, exec, s[52:53]
	s_waitcnt lgkmcnt(0)
	s_and_saveexec_b64 s[52:53], s[0:1]
	s_cbranch_execz .LBB10_38
; %bb.48:                               ;   in Loop: Header=BB10_39 Depth=2
	v_mov_b32_e32 v12, s69
	ds_read_b64 v[12:13], v12 offset:144
	v_add3_u32 v32, v19, s61, 1
	v_cmp_gt_i32_e64 s[10:11], s27, v32
	s_mov_b64 s[54:55], 0
	v_mov_b32_e32 v33, v16
	v_mov_b32_e32 v34, v11
	s_branch .LBB10_50
.LBB10_49:                              ;   in Loop: Header=BB10_50 Depth=3
	s_or_b64 exec, exec, s[56:57]
	v_add_u32_e32 v34, 16, v34
	v_cmp_le_i32_e32 vcc, s27, v34
	s_or_b64 s[54:55], vcc, s[54:55]
	v_add_u32_e32 v33, 0x80, v33
	s_andn2_b64 exec, exec, s[54:55]
	s_cbranch_execz .LBB10_38
.LBB10_50:                              ;   Parent Loop BB10_12 Depth=1
                                        ;     Parent Loop BB10_39 Depth=2
                                        ; =>    This Loop Header: Depth=3
                                        ;         Child Loop BB10_54 Depth 4
	v_lshl_add_u32 v35, v34, 3, s68
	ds_read_b64 v[14:15], v35 offset:2312
	s_waitcnt lgkmcnt(0)
	v_div_scale_f64 v[36:37], s[56:57], v[12:13], v[12:13], v[14:15]
	v_rcp_f64_e32 v[38:39], v[36:37]
	v_div_scale_f64 v[40:41], vcc, v[14:15], v[12:13], v[14:15]
	v_fma_f64 v[42:43], -v[36:37], v[38:39], 1.0
	v_fmac_f64_e32 v[38:39], v[38:39], v[42:43]
	v_fma_f64 v[42:43], -v[36:37], v[38:39], 1.0
	v_fmac_f64_e32 v[38:39], v[38:39], v[42:43]
	v_mul_f64 v[42:43], v[40:41], v[38:39]
	v_fma_f64 v[36:37], -v[36:37], v[42:43], v[40:41]
	v_div_fmas_f64 v[36:37], v[36:37], v[38:39], v[42:43]
	v_div_fixup_f64 v[14:15], v[36:37], v[12:13], v[14:15]
	s_and_saveexec_b64 s[56:57], s[6:7]
	s_cbranch_execz .LBB10_52
; %bb.51:                               ;   in Loop: Header=BB10_50 Depth=3
	v_add_u32_e32 v35, 0x908, v35
	ds_write_b64 v35, v[14:15]
.LBB10_52:                              ;   in Loop: Header=BB10_50 Depth=3
	s_or_b64 exec, exec, s[56:57]
	s_and_saveexec_b64 s[56:57], s[10:11]
	s_cbranch_execz .LBB10_49
; %bb.53:                               ;   in Loop: Header=BB10_50 Depth=3
	s_mov_b64 s[58:59], 0
	v_mov_b32_e32 v35, v33
	v_mov_b32_e32 v36, v17
	;; [unrolled: 1-line block ×3, first 2 shown]
.LBB10_54:                              ;   Parent Loop BB10_12 Depth=1
                                        ;     Parent Loop BB10_39 Depth=2
                                        ;       Parent Loop BB10_50 Depth=3
                                        ; =>      This Inner Loop Header: Depth=4
	ds_read_b64 v[38:39], v36
	ds_read_b64 v[40:41], v35
	v_add_u32_e32 v37, 4, v37
	v_cmp_le_i32_e32 vcc, s27, v37
	v_add_u32_e32 v36, 0x220, v36
	s_or_b64 s[58:59], vcc, s[58:59]
	s_waitcnt lgkmcnt(0)
	v_fma_f64 v[38:39], -v[14:15], v[38:39], v[40:41]
	ds_write_b64 v35, v[38:39]
	v_add_u32_e32 v35, 0x220, v35
	s_andn2_b64 exec, exec, s[58:59]
	s_cbranch_execnz .LBB10_54
	s_branch .LBB10_49
.LBB10_55:                              ;   in Loop: Header=BB10_12 Depth=1
	s_andn2_b64 vcc, exec, s[50:51]
	s_cbranch_vccnz .LBB10_65
; %bb.56:                               ;   in Loop: Header=BB10_12 Depth=1
	s_and_saveexec_b64 s[52:53], s[0:1]
	s_cbranch_execz .LBB10_64
; %bb.57:                               ;   in Loop: Header=BB10_12 Depth=1
	s_lshl_b32 s10, s54, 3
	s_mul_i32 s61, s54, 0x88
	s_add_i32 s10, s61, s10
	v_mov_b32_e32 v12, s10
	ds_read_b64 v[12:13], v12
	v_add_u32_e32 v14, s54, v18
	v_add_u32_e32 v30, s54, v19
	v_mad_u64_u32 v[14:15], s[56:57], v14, s67, v[10:11]
	s_mulk_i32 s54, 0x90
	v_cmp_gt_i32_e64 s[10:11], s27, v30
	v_add_u32_e32 v15, s54, v24
	s_mov_b64 s[54:55], 0
	v_mov_b32_e32 v31, v11
	s_branch .LBB10_59
.LBB10_58:                              ;   in Loop: Header=BB10_59 Depth=2
	s_or_b64 exec, exec, s[56:57]
	v_add_u32_e32 v31, 16, v31
	v_cmp_le_i32_e32 vcc, s27, v31
	s_or_b64 s[54:55], vcc, s[54:55]
	v_add_u32_e32 v14, 0x80, v14
	s_andn2_b64 exec, exec, s[54:55]
	s_cbranch_execz .LBB10_64
.LBB10_59:                              ;   Parent Loop BB10_12 Depth=1
                                        ; =>  This Loop Header: Depth=2
                                        ;       Child Loop BB10_63 Depth 3
	v_lshl_add_u32 v32, v31, 3, s61
	ds_read_b64 v[16:17], v32 offset:2176
	s_waitcnt lgkmcnt(0)
	v_div_scale_f64 v[34:35], s[56:57], v[12:13], v[12:13], v[16:17]
	v_rcp_f64_e32 v[36:37], v[34:35]
	v_div_scale_f64 v[38:39], vcc, v[16:17], v[12:13], v[16:17]
	v_fma_f64 v[40:41], -v[34:35], v[36:37], 1.0
	v_fmac_f64_e32 v[36:37], v[36:37], v[40:41]
	v_fma_f64 v[40:41], -v[34:35], v[36:37], 1.0
	v_fmac_f64_e32 v[36:37], v[36:37], v[40:41]
	v_mul_f64 v[40:41], v[38:39], v[36:37]
	v_fma_f64 v[34:35], -v[34:35], v[40:41], v[38:39]
	v_div_fmas_f64 v[34:35], v[34:35], v[36:37], v[40:41]
	v_div_fixup_f64 v[16:17], v[34:35], v[12:13], v[16:17]
	s_and_saveexec_b64 s[56:57], s[6:7]
	s_cbranch_execz .LBB10_61
; %bb.60:                               ;   in Loop: Header=BB10_59 Depth=2
	v_add_u32_e32 v32, 0x880, v32
	ds_write_b64 v32, v[16:17]
.LBB10_61:                              ;   in Loop: Header=BB10_59 Depth=2
	s_or_b64 exec, exec, s[56:57]
	s_and_saveexec_b64 s[56:57], s[10:11]
	s_cbranch_execz .LBB10_58
; %bb.62:                               ;   in Loop: Header=BB10_59 Depth=2
	s_mov_b64 s[58:59], 0
	v_mov_b32_e32 v32, v15
	v_mov_b32_e32 v33, v14
	;; [unrolled: 1-line block ×3, first 2 shown]
.LBB10_63:                              ;   Parent Loop BB10_12 Depth=1
                                        ;     Parent Loop BB10_59 Depth=2
                                        ; =>    This Inner Loop Header: Depth=3
	ds_read_b64 v[36:37], v32
	ds_read_b64 v[38:39], v33
	v_add_u32_e32 v34, 4, v34
	v_cmp_le_i32_e32 vcc, s27, v34
	s_or_b64 s[58:59], vcc, s[58:59]
	v_add_u32_e32 v32, 0x220, v32
	s_waitcnt lgkmcnt(0)
	v_fma_f64 v[36:37], -v[16:17], v[36:37], v[38:39]
	ds_write_b64 v33, v[36:37]
	v_add_u32_e32 v33, 0x220, v33
	s_andn2_b64 exec, exec, s[58:59]
	s_cbranch_execnz .LBB10_63
	s_branch .LBB10_58
.LBB10_64:                              ;   in Loop: Header=BB10_12 Depth=1
	s_or_b64 exec, exec, s[52:53]
	s_waitcnt lgkmcnt(0)
.LBB10_65:                              ;   in Loop: Header=BB10_12 Depth=1
	s_and_saveexec_b64 s[10:11], s[0:1]
	s_cbranch_execz .LBB10_75
; %bb.66:                               ;   in Loop: Header=BB10_12 Depth=1
	s_mul_i32 s61, s42, s27
	s_mov_b64 s[52:53], 0
	v_mov_b32_e32 v13, v22
	v_mov_b32_e32 v30, v7
	;; [unrolled: 1-line block ×3, first 2 shown]
	s_branch .LBB10_68
.LBB10_67:                              ;   in Loop: Header=BB10_68 Depth=2
	s_or_b64 exec, exec, s[54:55]
	v_add_u32_e32 v12, 16, v12
	v_cmp_le_i32_e32 vcc, s27, v12
	v_add_u32_e32 v30, s66, v30
	s_or_b64 s[52:53], vcc, s[52:53]
	v_add_u32_e32 v13, 0x80, v13
	s_andn2_b64 exec, exec, s[52:53]
	s_cbranch_execz .LBB10_75
.LBB10_68:                              ;   Parent Loop BB10_12 Depth=1
                                        ; =>  This Loop Header: Depth=2
                                        ;       Child Loop BB10_71 Depth 3
	s_and_saveexec_b64 s[54:55], s[4:5]
	s_cbranch_execz .LBB10_67
; %bb.69:                               ;   in Loop: Header=BB10_68 Depth=2
	s_mov_b64 s[56:57], 0
	v_mov_b32_e32 v31, v13
	v_mov_b32_e32 v32, v18
	s_branch .LBB10_71
.LBB10_70:                              ;   in Loop: Header=BB10_71 Depth=3
	v_ashrrev_i32_e32 v17, 31, v16
	v_lshlrev_b64 v[16:17], 3, v[16:17]
	v_mov_b32_e32 v33, s17
	v_add_co_u32_e32 v16, vcc, s16, v16
	v_addc_co_u32_e32 v17, vcc, v33, v17, vcc
	v_add_u32_e32 v32, 4, v32
	v_cmp_le_i32_e32 vcc, s27, v32
	s_or_b64 s[56:57], vcc, s[56:57]
	v_add_u32_e32 v31, 0x220, v31
	s_waitcnt lgkmcnt(0)
	global_store_dwordx2 v[16:17], v[14:15], off
	s_andn2_b64 exec, exec, s[56:57]
	s_cbranch_execz .LBB10_67
.LBB10_71:                              ;   Parent Loop BB10_12 Depth=1
                                        ;     Parent Loop BB10_68 Depth=2
                                        ; =>    This Inner Loop Header: Depth=3
	ds_read_b64 v[14:15], v31
	s_and_b64 vcc, exec, s[44:45]
	s_cbranch_vccz .LBB10_73
; %bb.72:                               ;   in Loop: Header=BB10_71 Depth=3
	v_add_u32_e32 v16, s61, v32
	v_mad_u64_u32 v[16:17], s[58:59], v16, s27, v[12:13]
	s_cbranch_execnz .LBB10_70
	s_branch .LBB10_74
.LBB10_73:                              ;   in Loop: Header=BB10_71 Depth=3
                                        ; implicit-def: $vgpr16
.LBB10_74:                              ;   in Loop: Header=BB10_71 Depth=3
	v_add_u32_e32 v16, v30, v32
	s_branch .LBB10_70
.LBB10_75:                              ;   in Loop: Header=BB10_12 Depth=1
	s_or_b64 exec, exec, s[10:11]
	s_sub_i32 s68, s60, s28
	s_add_i32 s10, s43, 1
	s_cmp_ge_i32 s10, s68
	s_cbranch_scc1 .LBB10_11
; %bb.76:                               ;   in Loop: Header=BB10_12 Depth=1
	s_mul_i32 s11, s27, s10
	v_add_u32_e32 v12, s11, v11
	v_mul_lo_u32 v30, s27, v12
	s_branch .LBB10_80
.LBB10_77:                              ;   in Loop: Header=BB10_80 Depth=2
	s_or_b64 exec, exec, s[54:55]
.LBB10_78:                              ;   in Loop: Header=BB10_80 Depth=2
	s_or_b64 exec, exec, s[52:53]
.LBB10_79:                              ;   in Loop: Header=BB10_80 Depth=2
	s_add_i32 s10, s10, 1
	s_cmp_lt_i32 s10, s68
	v_add_u32_e32 v30, s65, v30
	s_waitcnt lgkmcnt(0)
	s_cbranch_scc0 .LBB10_11
.LBB10_80:                              ;   Parent Loop BB10_12 Depth=1
                                        ; =>  This Loop Header: Depth=2
                                        ;       Child Loop BB10_85 Depth 3
                                        ;       Child Loop BB10_94 Depth 3
                                        ;         Child Loop BB10_97 Depth 4
                                        ;       Child Loop BB10_103 Depth 3
                                        ;         Child Loop BB10_106 Depth 4
                                        ;           Child Loop BB10_107 Depth 5
	s_ashr_i32 s11, s10, 31
	s_lshl_b64 s[52:53], s[10:11], 2
	s_add_u32 s52, s14, s52
	s_addc_u32 s53, s15, s53
	global_load_dword v12, v28, s[52:53]
	v_mov_b32_e32 v13, s33
	s_and_saveexec_b64 s[52:53], s[8:9]
	s_cbranch_execz .LBB10_82
; %bb.81:                               ;   in Loop: Header=BB10_80 Depth=2
	global_load_dword v13, v[8:9], off
	s_waitcnt vmcnt(0)
	v_subrev_u32_e32 v13, s28, v13
.LBB10_82:                              ;   in Loop: Header=BB10_80 Depth=2
	s_or_b64 exec, exec, s[52:53]
	s_waitcnt vmcnt(0)
	v_subrev_u32_e32 v14, s28, v12
	v_cmp_lt_i32_e32 vcc, v13, v14
	v_mov_b32_e32 v15, v6
	s_and_saveexec_b64 s[52:53], vcc
	s_cbranch_execz .LBB10_88
; %bb.83:                               ;   in Loop: Header=BB10_80 Depth=2
	s_mov_b64 s[54:55], 0
	v_mov_b32_e32 v12, v6
	s_branch .LBB10_85
.LBB10_84:                              ;   in Loop: Header=BB10_85 Depth=3
	s_or_b64 exec, exec, s[56:57]
	v_cmp_ge_i32_e32 vcc, v13, v14
	s_or_b64 s[54:55], vcc, s[54:55]
	v_mov_b32_e32 v12, v15
	s_andn2_b64 exec, exec, s[54:55]
	s_cbranch_execz .LBB10_87
.LBB10_85:                              ;   Parent Loop BB10_12 Depth=1
                                        ;     Parent Loop BB10_80 Depth=2
                                        ; =>    This Inner Loop Header: Depth=3
	v_add_u32_e32 v15, 64, v12
	v_cmp_gt_i32_e32 vcc, s29, v15
	v_mov_b32_e32 v13, s33
	s_and_saveexec_b64 s[56:57], vcc
	s_cbranch_execz .LBB10_84
; %bb.86:                               ;   in Loop: Header=BB10_85 Depth=3
	v_ashrrev_i32_e32 v13, 31, v12
	v_lshlrev_b64 v[12:13], 2, v[12:13]
	v_mov_b32_e32 v16, s64
	v_add_co_u32_e32 v12, vcc, s63, v12
	v_addc_co_u32_e32 v13, vcc, v16, v13, vcc
	global_load_dword v12, v[12:13], off
	s_waitcnt vmcnt(0)
	v_subrev_u32_e32 v13, s28, v12
	s_branch .LBB10_84
.LBB10_87:                              ;   in Loop: Header=BB10_80 Depth=2
	s_or_b64 exec, exec, s[54:55]
.LBB10_88:                              ;   in Loop: Header=BB10_80 Depth=2
	s_or_b64 exec, exec, s[52:53]
	v_cmp_eq_u32_e32 vcc, v13, v14
	s_cbranch_vccz .LBB10_79
; %bb.89:                               ;   in Loop: Header=BB10_80 Depth=2
	s_ff1_i32_b64 s11, vcc
	v_and_or_b32 v12, v29, 64, s11
	v_lshlrev_b32_e32 v12, 2, v12
	ds_bpermute_b32 v13, v12, v15
	s_and_saveexec_b64 s[52:53], s[2:3]
	s_xor_b64 s[52:53], exec, s[52:53]
	s_cbranch_execz .LBB10_91
; %bb.90:                               ;   in Loop: Header=BB10_80 Depth=2
	s_waitcnt lgkmcnt(0)
                                        ; implicit-def: $vgpr13
.LBB10_91:                              ;   in Loop: Header=BB10_80 Depth=2
	s_andn2_saveexec_b64 s[52:53], s[52:53]
	s_cbranch_execz .LBB10_78
; %bb.92:                               ;   in Loop: Header=BB10_80 Depth=2
	s_mul_i32 s11, s10, s27
	s_mov_b64 s[54:55], 0
	v_mov_b32_e32 v16, v21
	v_mov_b32_e32 v17, v30
	;; [unrolled: 1-line block ×3, first 2 shown]
	s_branch .LBB10_94
.LBB10_93:                              ;   in Loop: Header=BB10_94 Depth=3
	s_or_b64 exec, exec, s[56:57]
	v_add_u32_e32 v12, 16, v12
	v_cmp_le_i32_e32 vcc, s27, v12
	v_add_u32_e32 v17, s66, v17
	s_or_b64 s[54:55], vcc, s[54:55]
	v_add_u32_e32 v16, 0x80, v16
	s_andn2_b64 exec, exec, s[54:55]
	s_cbranch_execz .LBB10_101
.LBB10_94:                              ;   Parent Loop BB10_12 Depth=1
                                        ;     Parent Loop BB10_80 Depth=2
                                        ; =>    This Loop Header: Depth=3
                                        ;         Child Loop BB10_97 Depth 4
	s_and_saveexec_b64 s[56:57], s[4:5]
	s_cbranch_execz .LBB10_93
; %bb.95:                               ;   in Loop: Header=BB10_94 Depth=3
	s_mov_b64 s[58:59], 0
	v_mov_b32_e32 v31, v16
	v_mov_b32_e32 v32, v18
	s_branch .LBB10_97
.LBB10_96:                              ;   in Loop: Header=BB10_97 Depth=4
	v_ashrrev_i32_e32 v15, 31, v14
	v_lshlrev_b64 v[14:15], 3, v[14:15]
	v_mov_b32_e32 v33, s17
	v_add_co_u32_e32 v14, vcc, s16, v14
	v_addc_co_u32_e32 v15, vcc, v33, v15, vcc
	global_load_dwordx2 v[14:15], v[14:15], off
	v_add_u32_e32 v32, 4, v32
	v_cmp_le_i32_e32 vcc, s27, v32
	s_or_b64 s[58:59], vcc, s[58:59]
	s_waitcnt vmcnt(0)
	ds_write_b64 v31, v[14:15]
	v_add_u32_e32 v31, 0x220, v31
	s_andn2_b64 exec, exec, s[58:59]
	s_cbranch_execz .LBB10_93
.LBB10_97:                              ;   Parent Loop BB10_12 Depth=1
                                        ;     Parent Loop BB10_80 Depth=2
                                        ;       Parent Loop BB10_94 Depth=3
                                        ; =>      This Inner Loop Header: Depth=4
	s_and_b64 vcc, exec, s[44:45]
	s_cbranch_vccz .LBB10_99
; %bb.98:                               ;   in Loop: Header=BB10_97 Depth=4
	v_add_u32_e32 v14, s11, v32
	s_waitcnt lgkmcnt(0)
	v_mad_u64_u32 v[14:15], s[60:61], v14, s27, v[12:13]
	s_cbranch_execnz .LBB10_96
	s_branch .LBB10_100
.LBB10_99:                              ;   in Loop: Header=BB10_97 Depth=4
                                        ; implicit-def: $vgpr14
.LBB10_100:                             ;   in Loop: Header=BB10_97 Depth=4
	v_add_u32_e32 v14, v17, v32
	s_branch .LBB10_96
.LBB10_101:                             ;   in Loop: Header=BB10_80 Depth=2
	s_or_b64 exec, exec, s[54:55]
	s_waitcnt lgkmcnt(0)
	v_mul_lo_u32 v13, v13, s27
	s_mov_b64 s[54:55], 0
	v_mov_b32_e32 v31, v27
	v_mov_b32_e32 v12, v11
	s_branch .LBB10_103
.LBB10_102:                             ;   in Loop: Header=BB10_103 Depth=3
	s_or_b64 exec, exec, s[56:57]
	v_add_u32_e32 v12, 16, v12
	v_cmp_le_i32_e32 vcc, s27, v12
	s_or_b64 s[54:55], vcc, s[54:55]
	v_add_u32_e32 v31, 0x80, v31
	s_andn2_b64 exec, exec, s[54:55]
	s_cbranch_execz .LBB10_77
.LBB10_103:                             ;   Parent Loop BB10_12 Depth=1
                                        ;     Parent Loop BB10_80 Depth=2
                                        ; =>    This Loop Header: Depth=3
                                        ;         Child Loop BB10_106 Depth 4
                                        ;           Child Loop BB10_107 Depth 5
	s_and_saveexec_b64 s[56:57], s[4:5]
	s_cbranch_execz .LBB10_102
; %bb.104:                              ;   in Loop: Header=BB10_103 Depth=3
	v_add_u32_e32 v14, v12, v13
	v_mul_lo_u32 v32, v14, s27
	s_mov_b64 s[58:59], 0
	v_mov_b32_e32 v33, v20
	v_mov_b32_e32 v34, v18
	s_branch .LBB10_106
.LBB10_105:                             ;   in Loop: Header=BB10_106 Depth=4
	v_ashrrev_i32_e32 v17, 31, v16
	v_lshlrev_b64 v[16:17], 3, v[16:17]
	v_mov_b32_e32 v35, s17
	v_add_co_u32_e32 v16, vcc, s16, v16
	v_addc_co_u32_e32 v17, vcc, v35, v17, vcc
	global_load_dwordx2 v[36:37], v[16:17], off
	v_add_u32_e32 v34, 4, v34
	v_cmp_le_i32_e32 vcc, s27, v34
	s_or_b64 s[58:59], vcc, s[58:59]
	v_add_u32_e32 v33, 0x220, v33
	s_waitcnt vmcnt(0)
	v_add_f64 v[14:15], v[36:37], -v[14:15]
	global_store_dwordx2 v[16:17], v[14:15], off
	s_andn2_b64 exec, exec, s[58:59]
	s_cbranch_execz .LBB10_102
.LBB10_106:                             ;   Parent Loop BB10_12 Depth=1
                                        ;     Parent Loop BB10_80 Depth=2
                                        ;       Parent Loop BB10_103 Depth=3
                                        ; =>      This Loop Header: Depth=4
                                        ;           Child Loop BB10_107 Depth 5
	v_pk_mov_b32 v[14:15], 0, 0
	v_mov_b32_e32 v16, v31
	v_mov_b32_e32 v17, v33
	s_mov_b32 s11, s27
.LBB10_107:                             ;   Parent Loop BB10_12 Depth=1
                                        ;     Parent Loop BB10_80 Depth=2
                                        ;       Parent Loop BB10_103 Depth=3
                                        ;         Parent Loop BB10_106 Depth=4
                                        ; =>        This Inner Loop Header: Depth=5
	ds_read_b64 v[36:37], v16
	ds_read_b64 v[38:39], v17
	s_add_i32 s11, s11, -1
	v_add_u32_e32 v17, 8, v17
	v_add_u32_e32 v16, 0x88, v16
	s_cmp_eq_u32 s11, 0
	s_waitcnt lgkmcnt(0)
	v_fmac_f64_e32 v[14:15], v[36:37], v[38:39]
	s_cbranch_scc0 .LBB10_107
; %bb.108:                              ;   in Loop: Header=BB10_106 Depth=4
	s_and_b64 vcc, exec, s[44:45]
	s_cbranch_vccz .LBB10_110
; %bb.109:                              ;   in Loop: Header=BB10_106 Depth=4
	v_add_u32_e32 v16, v34, v13
	v_mad_u64_u32 v[16:17], s[60:61], v16, s27, v[12:13]
	s_cbranch_execnz .LBB10_105
	s_branch .LBB10_111
.LBB10_110:                             ;   in Loop: Header=BB10_106 Depth=4
                                        ; implicit-def: $vgpr16
.LBB10_111:                             ;   in Loop: Header=BB10_106 Depth=4
	v_add_u32_e32 v16, v34, v32
	s_branch .LBB10_105
.LBB10_112:
	s_ashr_i32 s37, s36, 31
	s_lshl_b64 s[0:1], s[36:37], 2
	s_add_u32 s0, s14, s0
	s_addc_u32 s1, s15, s1
	v_mov_b32_e32 v6, 0
	global_load_dword v6, v6, s[0:1]
	s_waitcnt vmcnt(0)
	v_subrev_u32_e32 v6, s28, v6
	v_cmp_ne_u32_e32 vcc, s26, v6
	s_cbranch_vccnz .LBB10_157
; %bb.113:
	v_and_b32_e32 v6, 0x3ff, v0
	v_cmp_gt_i32_e64 s[0:1], s27, v6
	s_and_saveexec_b64 s[4:5], s[0:1]
	s_cbranch_execz .LBB10_124
; %bb.114:
	s_mul_i32 s18, s36, s27
	v_add_u32_e32 v8, s18, v6
	v_bfe_u32 v7, v0, 10, 10
	s_cmp_lg_u32 s38, 0
	v_mul_lo_u32 v9, s27, v8
	v_lshlrev_b32_e32 v8, 3, v6
	s_movk_i32 s8, 0x88
	v_cmp_gt_u32_e64 s[2:3], s27, v7
	s_cselect_b64 s[6:7], -1, 0
	s_lshl_b32 s19, s27, 4
	v_mad_u32_u24 v12, v7, s8, v8
	s_mov_b64 s[8:9], 0
	v_mov_b32_e32 v8, v6
	s_branch .LBB10_116
.LBB10_115:                             ;   in Loop: Header=BB10_116 Depth=1
	s_or_b64 exec, exec, s[10:11]
	v_add_u32_e32 v8, 16, v8
	v_cmp_le_i32_e32 vcc, s27, v8
	v_add_u32_e32 v9, s19, v9
	s_or_b64 s[8:9], vcc, s[8:9]
	v_add_u32_e32 v12, 0x80, v12
	s_andn2_b64 exec, exec, s[8:9]
	s_cbranch_execz .LBB10_124
.LBB10_116:                             ; =>This Loop Header: Depth=1
                                        ;     Child Loop BB10_119 Depth 2
	s_and_saveexec_b64 s[10:11], s[2:3]
	s_cbranch_execz .LBB10_115
; %bb.117:                              ;   in Loop: Header=BB10_116 Depth=1
	s_mov_b64 s[12:13], 0
	v_mov_b32_e32 v13, v12
	v_mov_b32_e32 v14, v7
	s_branch .LBB10_119
.LBB10_118:                             ;   in Loop: Header=BB10_119 Depth=2
	v_ashrrev_i32_e32 v11, 31, v10
	v_lshlrev_b64 v[10:11], 3, v[10:11]
	v_mov_b32_e32 v15, s17
	v_add_co_u32_e32 v10, vcc, s16, v10
	v_addc_co_u32_e32 v11, vcc, v15, v11, vcc
	global_load_dwordx2 v[10:11], v[10:11], off
	v_add_u32_e32 v14, 4, v14
	v_cmp_le_i32_e32 vcc, s27, v14
	s_or_b64 s[12:13], vcc, s[12:13]
	s_waitcnt vmcnt(0)
	ds_write_b64 v13, v[10:11]
	v_add_u32_e32 v13, 0x220, v13
	s_andn2_b64 exec, exec, s[12:13]
	s_cbranch_execz .LBB10_115
.LBB10_119:                             ;   Parent Loop BB10_116 Depth=1
                                        ; =>  This Inner Loop Header: Depth=2
	s_and_b64 vcc, exec, s[6:7]
	s_cbranch_vccz .LBB10_121
; %bb.120:                              ;   in Loop: Header=BB10_119 Depth=2
	v_add_u32_e32 v10, s18, v14
	v_mad_u64_u32 v[10:11], s[14:15], v10, s27, v[8:9]
	s_cbranch_execnz .LBB10_118
	s_branch .LBB10_122
.LBB10_121:                             ;   in Loop: Header=BB10_119 Depth=2
                                        ; implicit-def: $vgpr10
.LBB10_122:                             ;   in Loop: Header=BB10_119 Depth=2
	v_add_u32_e32 v10, v9, v14
	s_branch .LBB10_118
.LBB10_123:
	s_mov_b64 s[34:35], -1
	s_branch .LBB10_190
.LBB10_124:
	s_or_b64 exec, exec, s[4:5]
	s_cmp_lt_i32 s27, 1
	s_waitcnt lgkmcnt(0)
	s_cbranch_scc1 .LBB10_146
; %bb.125:
	s_cmp_eq_u64 s[20:21], 8
	v_cvt_f64_f32_e32 v[8:9], v1
	v_bfe_u32 v1, v0, 10, 10
	s_cselect_b64 vcc, -1, 0
	v_or_b32_e32 v7, v6, v1
	v_cndmask_b32_e32 v4, v8, v4, vcc
	v_cmp_eq_u32_e64 s[2:3], 0, v7
	v_mov_b32_e32 v7, 0x90
	v_cndmask_b32_e64 v8, 0, 1, s[40:41]
	v_cndmask_b32_e32 v5, v9, v5, vcc
	s_mov_b32 s20, 0
	v_cmp_eq_u32_e64 s[4:5], 0, v1
	v_lshl_add_u32 v7, v6, 3, v7
	v_mul_u32_u24_e32 v12, 0x88, v1
	v_cmp_ne_u32_e64 s[6:7], 1, v8
.LBB10_126:                             ; =>This Loop Header: Depth=1
                                        ;     Child Loop BB10_138 Depth 2
                                        ;       Child Loop BB10_142 Depth 3
	s_lshl_b32 s8, s20, 3
	s_mul_i32 s21, s20, 0x88
	s_add_i32 s10, s21, s8
	v_mov_b32_e32 v8, s10
	s_waitcnt lgkmcnt(0)
	ds_read_b64 v[10:11], v8
	s_and_b64 vcc, exec, s[6:7]
	s_cbranch_vccnz .LBB10_130
; %bb.127:                              ;   in Loop: Header=BB10_126 Depth=1
	s_waitcnt lgkmcnt(0)
	v_xor_b32_e32 v8, 0x80000000, v11
	v_cmp_gt_f64_e32 vcc, 0, v[10:11]
	v_cndmask_b32_e32 v9, v11, v8, vcc
	v_cndmask_b32_e32 v8, v10, v10, vcc
	v_cmp_le_f64_e32 vcc, v[8:9], v[4:5]
	v_cndmask_b32_e32 v9, v11, v3, vcc
	v_cndmask_b32_e32 v8, v10, v2, vcc
	s_and_saveexec_b64 s[8:9], s[2:3]
	s_cbranch_execz .LBB10_129
; %bb.128:                              ;   in Loop: Header=BB10_126 Depth=1
	v_mov_b32_e32 v13, s10
	ds_write_b64 v13, v[8:9]
.LBB10_129:                             ;   in Loop: Header=BB10_126 Depth=1
	s_or_b64 exec, exec, s[8:9]
	s_mov_b64 s[10:11], -1
	s_mov_b64 s[8:9], 0
	s_cbranch_execz .LBB10_131
	s_branch .LBB10_132
.LBB10_130:                             ;   in Loop: Header=BB10_126 Depth=1
	s_mov_b64 s[10:11], 0
                                        ; implicit-def: $vgpr8_vgpr9
	s_mov_b64 s[8:9], 0
.LBB10_131:                             ;   in Loop: Header=BB10_126 Depth=1
	s_waitcnt lgkmcnt(0)
	v_cmp_neq_f64_e64 s[10:11], 0, v[10:11]
	s_mov_b64 s[8:9], -1
	v_pk_mov_b32 v[8:9], v[10:11], v[10:11] op_sel:[0,1]
.LBB10_132:                             ;   in Loop: Header=BB10_126 Depth=1
	s_andn2_b64 vcc, exec, s[10:11]
                                        ; implicit-def: $sgpr33
	s_cbranch_vccz .LBB10_135
; %bb.133:                              ;   in Loop: Header=BB10_126 Depth=1
	s_andn2_b64 vcc, exec, s[8:9]
	s_cbranch_vccz .LBB10_144
.LBB10_134:                             ;   in Loop: Header=BB10_126 Depth=1
	s_cmp_eq_u32 s33, s27
	s_cbranch_scc0 .LBB10_145
	s_branch .LBB10_146
.LBB10_135:                             ;   in Loop: Header=BB10_126 Depth=1
	s_add_i32 s33, s20, 1
	v_add_u32_e32 v13, s33, v6
	v_cmp_gt_i32_e32 vcc, s27, v13
	s_and_saveexec_b64 s[10:11], vcc
	s_cbranch_execz .LBB10_143
; %bb.136:                              ;   in Loop: Header=BB10_126 Depth=1
	v_add_u32_e32 v14, s33, v1
	s_mul_i32 s12, s20, 0x90
	v_cmp_gt_i32_e64 s[8:9], s27, v14
	v_add_u32_e32 v15, s12, v12
	s_mov_b64 s[12:13], 0
	v_mov_b32_e32 v16, v7
	s_branch .LBB10_138
.LBB10_137:                             ;   in Loop: Header=BB10_138 Depth=2
	s_or_b64 exec, exec, s[14:15]
	v_add_u32_e32 v13, 16, v13
	v_cmp_le_i32_e32 vcc, s27, v13
	s_or_b64 s[12:13], vcc, s[12:13]
	v_add_u32_e32 v16, 0x80, v16
	s_andn2_b64 exec, exec, s[12:13]
	s_cbranch_execz .LBB10_143
.LBB10_138:                             ;   Parent Loop BB10_126 Depth=1
                                        ; =>  This Loop Header: Depth=2
                                        ;       Child Loop BB10_142 Depth 3
	v_lshl_add_u32 v17, v13, 3, s21
	s_waitcnt lgkmcnt(0)
	ds_read_b64 v[10:11], v17
	s_waitcnt lgkmcnt(0)
	v_div_scale_f64 v[18:19], s[14:15], v[8:9], v[8:9], v[10:11]
	v_rcp_f64_e32 v[20:21], v[18:19]
	v_div_scale_f64 v[22:23], vcc, v[10:11], v[8:9], v[10:11]
	v_fma_f64 v[24:25], -v[18:19], v[20:21], 1.0
	v_fmac_f64_e32 v[20:21], v[20:21], v[24:25]
	v_fma_f64 v[24:25], -v[18:19], v[20:21], 1.0
	v_fmac_f64_e32 v[20:21], v[20:21], v[24:25]
	v_mul_f64 v[24:25], v[22:23], v[20:21]
	v_fma_f64 v[18:19], -v[18:19], v[24:25], v[22:23]
	v_div_fmas_f64 v[18:19], v[18:19], v[20:21], v[24:25]
	v_div_fixup_f64 v[10:11], v[18:19], v[8:9], v[10:11]
	s_and_saveexec_b64 s[14:15], s[4:5]
	s_cbranch_execz .LBB10_140
; %bb.139:                              ;   in Loop: Header=BB10_138 Depth=2
	ds_write_b64 v17, v[10:11]
.LBB10_140:                             ;   in Loop: Header=BB10_138 Depth=2
	s_or_b64 exec, exec, s[14:15]
	s_and_saveexec_b64 s[14:15], s[8:9]
	s_cbranch_execz .LBB10_137
; %bb.141:                              ;   in Loop: Header=BB10_138 Depth=2
	s_mov_b64 s[18:19], 0
	v_mov_b32_e32 v17, v15
	v_mov_b32_e32 v18, v14
.LBB10_142:                             ;   Parent Loop BB10_126 Depth=1
                                        ;     Parent Loop BB10_138 Depth=2
                                        ; =>    This Inner Loop Header: Depth=3
	v_add_u32_e32 v19, v17, v16
	ds_read_b64 v[20:21], v17 offset:136
	ds_read_b64 v[22:23], v19
	v_add_u32_e32 v18, 4, v18
	v_cmp_le_i32_e32 vcc, s27, v18
	v_add_u32_e32 v17, 0x220, v17
	s_or_b64 s[18:19], vcc, s[18:19]
	s_waitcnt lgkmcnt(0)
	v_fma_f64 v[20:21], -v[10:11], v[20:21], v[22:23]
	ds_write_b64 v19, v[20:21]
	s_andn2_b64 exec, exec, s[18:19]
	s_cbranch_execnz .LBB10_142
	s_branch .LBB10_137
.LBB10_143:                             ;   in Loop: Header=BB10_126 Depth=1
	s_or_b64 exec, exec, s[10:11]
	s_cbranch_execnz .LBB10_134
.LBB10_144:                             ;   in Loop: Header=BB10_126 Depth=1
	s_add_i32 s33, s20, 1
	s_mov_b64 s[34:35], -1
	s_cmp_eq_u32 s33, s27
	s_cbranch_scc1 .LBB10_146
.LBB10_145:                             ;   in Loop: Header=BB10_126 Depth=1
	s_mov_b32 s20, s33
	s_branch .LBB10_126
.LBB10_146:
	s_waitcnt lgkmcnt(0)
	s_and_saveexec_b64 s[2:3], s[0:1]
	s_cbranch_execz .LBB10_156
; %bb.147:
	s_mul_i32 s14, s36, s27
	v_add_u32_e32 v2, s14, v6
	v_bfe_u32 v1, v0, 10, 10
	s_cmp_lg_u32 s38, 0
	v_mul_lo_u32 v7, s27, v2
	v_lshlrev_b32_e32 v2, 3, v6
	s_movk_i32 s6, 0x88
	v_cmp_gt_u32_e64 s[0:1], s27, v1
	s_cselect_b64 s[4:5], -1, 0
	s_lshl_b32 s15, s27, 4
	v_mad_u32_u24 v8, v1, s6, v2
	s_mov_b64 s[6:7], 0
	s_branch .LBB10_149
.LBB10_148:                             ;   in Loop: Header=BB10_149 Depth=1
	s_or_b64 exec, exec, s[8:9]
	v_add_u32_e32 v6, 16, v6
	v_cmp_le_i32_e32 vcc, s27, v6
	v_add_u32_e32 v7, s15, v7
	s_or_b64 s[6:7], vcc, s[6:7]
	v_add_u32_e32 v8, 0x80, v8
	s_andn2_b64 exec, exec, s[6:7]
	s_cbranch_execz .LBB10_156
.LBB10_149:                             ; =>This Loop Header: Depth=1
                                        ;     Child Loop BB10_152 Depth 2
	s_and_saveexec_b64 s[8:9], s[0:1]
	s_cbranch_execz .LBB10_148
; %bb.150:                              ;   in Loop: Header=BB10_149 Depth=1
	s_mov_b64 s[10:11], 0
	v_mov_b32_e32 v9, v8
	v_mov_b32_e32 v10, v1
	s_branch .LBB10_152
.LBB10_151:                             ;   in Loop: Header=BB10_152 Depth=2
	v_ashrrev_i32_e32 v5, 31, v4
	v_lshlrev_b64 v[4:5], 3, v[4:5]
	v_mov_b32_e32 v11, s17
	v_add_co_u32_e32 v4, vcc, s16, v4
	v_addc_co_u32_e32 v5, vcc, v11, v5, vcc
	v_add_u32_e32 v10, 4, v10
	v_cmp_le_i32_e32 vcc, s27, v10
	s_or_b64 s[10:11], vcc, s[10:11]
	v_add_u32_e32 v9, 0x220, v9
	s_waitcnt lgkmcnt(0)
	global_store_dwordx2 v[4:5], v[2:3], off
	s_andn2_b64 exec, exec, s[10:11]
	s_cbranch_execz .LBB10_148
.LBB10_152:                             ;   Parent Loop BB10_149 Depth=1
                                        ; =>  This Inner Loop Header: Depth=2
	ds_read_b64 v[2:3], v9
	s_and_b64 vcc, exec, s[4:5]
	s_cbranch_vccz .LBB10_154
; %bb.153:                              ;   in Loop: Header=BB10_152 Depth=2
	v_add_u32_e32 v4, s14, v10
	v_mad_u64_u32 v[4:5], s[12:13], v4, s27, v[6:7]
	s_cbranch_execnz .LBB10_151
	s_branch .LBB10_155
.LBB10_154:                             ;   in Loop: Header=BB10_152 Depth=2
                                        ; implicit-def: $vgpr4
.LBB10_155:                             ;   in Loop: Header=BB10_152 Depth=2
	v_add_u32_e32 v4, v7, v10
	s_branch .LBB10_151
.LBB10_156:
	s_or_b64 exec, exec, s[2:3]
.LBB10_157:
	s_add_i32 s20, s36, 1
	s_cmp_ge_i32 s20, s29
	s_cbranch_scc1 .LBB10_190
; %bb.158:
	v_and_b32_e32 v1, 0x3ff, v0
	s_mul_i32 s4, s27, s20
	v_bfe_u32 v3, v0, 10, 10
	s_cmp_lg_u32 s38, 0
	v_add_u32_e32 v2, s4, v1
	s_cselect_b64 s[8:9], -1, 0
	s_cmp_gt_i32 s27, 0
	v_mul_lo_u32 v9, s27, v2
	v_mul_u32_u24_e32 v2, 0x88, v3
	v_lshlrev_b32_e32 v4, 3, v1
	s_movk_i32 s6, 0x880
	s_cselect_b64 s[4:5], -1, 0
	v_add3_u32 v10, v2, v4, s6
	v_mul_u32_u24_e32 v2, 0x88, v1
	v_lshlrev_b32_e32 v4, 3, v3
	s_movk_i32 s6, 0x888
	v_add3_u32 v11, v4, v2, s6
	v_cndmask_b32_e64 v2, 0, 1, s[4:5]
	v_cmp_gt_i32_e64 s[0:1], s27, v1
	v_cmp_gt_i32_e64 s[2:3], s27, v3
	v_add_u32_e32 v8, 1, v3
	s_mul_i32 s21, s27, s27
	s_lshl_b32 s33, s27, 4
	s_movk_i32 s36, 0x88
	v_add_u32_e32 v12, 8, v4
	v_cmp_ne_u32_e64 s[4:5], 1, v2
.LBB10_159:                             ; =>This Loop Header: Depth=1
                                        ;     Child Loop BB10_162 Depth 2
                                        ;       Child Loop BB10_165 Depth 3
                                        ;     Child Loop BB10_172 Depth 2
                                        ;       Child Loop BB10_175 Depth 3
                                        ;         Child Loop BB10_177 Depth 4
                                        ;     Child Loop BB10_181 Depth 2
                                        ;       Child Loop BB10_184 Depth 3
	s_mul_i32 s37, s20, s27
	s_waitcnt lgkmcnt(0)
	s_and_saveexec_b64 s[6:7], s[0:1]
	s_cbranch_execz .LBB10_169
; %bb.160:                              ;   in Loop: Header=BB10_159 Depth=1
	s_mov_b64 s[10:11], 0
	v_mov_b32_e32 v6, v10
	v_mov_b32_e32 v7, v9
	;; [unrolled: 1-line block ×3, first 2 shown]
	s_branch .LBB10_162
.LBB10_161:                             ;   in Loop: Header=BB10_162 Depth=2
	s_or_b64 exec, exec, s[12:13]
	v_add_u32_e32 v2, 16, v2
	v_cmp_le_i32_e32 vcc, s27, v2
	v_add_u32_e32 v7, s33, v7
	s_or_b64 s[10:11], vcc, s[10:11]
	v_add_u32_e32 v6, 0x80, v6
	s_andn2_b64 exec, exec, s[10:11]
	s_cbranch_execz .LBB10_169
.LBB10_162:                             ;   Parent Loop BB10_159 Depth=1
                                        ; =>  This Loop Header: Depth=2
                                        ;       Child Loop BB10_165 Depth 3
	s_and_saveexec_b64 s[12:13], s[2:3]
	s_cbranch_execz .LBB10_161
; %bb.163:                              ;   in Loop: Header=BB10_162 Depth=2
	s_mov_b64 s[14:15], 0
	v_mov_b32_e32 v13, v6
	v_mov_b32_e32 v14, v3
	s_branch .LBB10_165
.LBB10_164:                             ;   in Loop: Header=BB10_165 Depth=3
	v_ashrrev_i32_e32 v5, 31, v4
	v_lshlrev_b64 v[4:5], 3, v[4:5]
	v_mov_b32_e32 v15, s17
	v_add_co_u32_e32 v4, vcc, s16, v4
	v_addc_co_u32_e32 v5, vcc, v15, v5, vcc
	global_load_dwordx2 v[4:5], v[4:5], off
	v_add_u32_e32 v14, 4, v14
	v_cmp_le_i32_e32 vcc, s27, v14
	s_or_b64 s[14:15], vcc, s[14:15]
	s_waitcnt vmcnt(0)
	ds_write_b64 v13, v[4:5]
	v_add_u32_e32 v13, 0x220, v13
	s_andn2_b64 exec, exec, s[14:15]
	s_cbranch_execz .LBB10_161
.LBB10_165:                             ;   Parent Loop BB10_159 Depth=1
                                        ;     Parent Loop BB10_162 Depth=2
                                        ; =>    This Inner Loop Header: Depth=3
	s_and_b64 vcc, exec, s[8:9]
	s_cbranch_vccz .LBB10_167
; %bb.166:                              ;   in Loop: Header=BB10_165 Depth=3
	v_add_u32_e32 v4, s37, v14
	v_mad_u64_u32 v[4:5], s[18:19], v4, s27, v[2:3]
	s_cbranch_execnz .LBB10_164
	s_branch .LBB10_168
.LBB10_167:                             ;   in Loop: Header=BB10_165 Depth=3
                                        ; implicit-def: $vgpr4
.LBB10_168:                             ;   in Loop: Header=BB10_165 Depth=3
	v_add_u32_e32 v4, v7, v14
	s_branch .LBB10_164
.LBB10_169:                             ;   in Loop: Header=BB10_159 Depth=1
	s_or_b64 exec, exec, s[6:7]
	s_and_b64 vcc, exec, s[4:5]
	s_waitcnt lgkmcnt(0)
	s_cbranch_vccnz .LBB10_178
; %bb.170:                              ;   in Loop: Header=BB10_159 Depth=1
	s_mov_b32 s38, 0
	v_mov_b32_e32 v2, v12
	v_mov_b32_e32 v4, v11
	s_branch .LBB10_172
.LBB10_171:                             ;   in Loop: Header=BB10_172 Depth=2
	s_or_b64 exec, exec, s[10:11]
	s_add_i32 s38, s38, 1
	v_add_u32_e32 v4, 8, v4
	s_cmp_eq_u32 s38, s27
	v_add_u32_e32 v2, 0x90, v2
	s_cbranch_scc1 .LBB10_178
.LBB10_172:                             ;   Parent Loop BB10_159 Depth=1
                                        ; =>  This Loop Header: Depth=2
                                        ;       Child Loop BB10_175 Depth 3
                                        ;         Child Loop BB10_177 Depth 4
	s_and_saveexec_b64 s[10:11], s[0:1]
	s_cbranch_execz .LBB10_171
; %bb.173:                              ;   in Loop: Header=BB10_172 Depth=2
	v_add_u32_e32 v5, s38, v8
	s_lshl_b32 s39, s38, 3
	v_cmp_gt_i32_e32 vcc, s27, v5
	s_mov_b64 s[12:13], 0
	s_addk_i32 s39, 0x880
	v_mov_b32_e32 v6, v4
	v_mov_b32_e32 v7, v1
	s_branch .LBB10_175
.LBB10_174:                             ;   in Loop: Header=BB10_175 Depth=3
	s_or_b64 exec, exec, s[14:15]
	v_add_u32_e32 v7, 16, v7
	v_cmp_le_i32_e64 s[6:7], s27, v7
	s_or_b64 s[12:13], s[6:7], s[12:13]
	v_add_u32_e32 v6, 0x880, v6
	s_andn2_b64 exec, exec, s[12:13]
	s_cbranch_execz .LBB10_171
.LBB10_175:                             ;   Parent Loop BB10_159 Depth=1
                                        ;     Parent Loop BB10_172 Depth=2
                                        ; =>    This Loop Header: Depth=3
                                        ;         Child Loop BB10_177 Depth 4
	s_and_saveexec_b64 s[14:15], vcc
	s_cbranch_execz .LBB10_174
; %bb.176:                              ;   in Loop: Header=BB10_175 Depth=3
	v_mul_lo_u32 v13, v7, s36
	v_add_u32_e32 v13, s39, v13
	s_mov_b64 s[18:19], 0
	v_mov_b32_e32 v14, v2
	v_mov_b32_e32 v15, v6
	v_mov_b32_e32 v16, v5
.LBB10_177:                             ;   Parent Loop BB10_159 Depth=1
                                        ;     Parent Loop BB10_172 Depth=2
                                        ;       Parent Loop BB10_175 Depth=3
                                        ; =>      This Inner Loop Header: Depth=4
	ds_read_b64 v[18:19], v14
	ds_read_b64 v[20:21], v13
	ds_read_b64 v[22:23], v15
	v_add_u32_e32 v16, 4, v16
	v_cmp_le_i32_e64 s[6:7], s27, v16
	s_or_b64 s[18:19], s[6:7], s[18:19]
	v_add_u32_e32 v14, 32, v14
	s_waitcnt lgkmcnt(0)
	v_fma_f64 v[18:19], -v[18:19], v[20:21], v[22:23]
	ds_write_b64 v15, v[18:19]
	v_add_u32_e32 v15, 32, v15
	s_andn2_b64 exec, exec, s[18:19]
	s_cbranch_execnz .LBB10_177
	s_branch .LBB10_174
.LBB10_178:                             ;   in Loop: Header=BB10_159 Depth=1
	s_waitcnt lgkmcnt(0)
	s_and_saveexec_b64 s[6:7], s[0:1]
	s_cbranch_execz .LBB10_188
; %bb.179:                              ;   in Loop: Header=BB10_159 Depth=1
	s_mov_b64 s[10:11], 0
	v_mov_b32_e32 v13, v10
	v_mov_b32_e32 v14, v9
	v_mov_b32_e32 v2, v1
	s_branch .LBB10_181
.LBB10_180:                             ;   in Loop: Header=BB10_181 Depth=2
	s_or_b64 exec, exec, s[12:13]
	v_add_u32_e32 v2, 16, v2
	v_cmp_le_i32_e32 vcc, s27, v2
	v_add_u32_e32 v14, s33, v14
	s_or_b64 s[10:11], vcc, s[10:11]
	v_add_u32_e32 v13, 0x80, v13
	s_andn2_b64 exec, exec, s[10:11]
	s_cbranch_execz .LBB10_188
.LBB10_181:                             ;   Parent Loop BB10_159 Depth=1
                                        ; =>  This Loop Header: Depth=2
                                        ;       Child Loop BB10_184 Depth 3
	s_and_saveexec_b64 s[12:13], s[2:3]
	s_cbranch_execz .LBB10_180
; %bb.182:                              ;   in Loop: Header=BB10_181 Depth=2
	s_mov_b64 s[14:15], 0
	v_mov_b32_e32 v15, v13
	v_mov_b32_e32 v16, v3
	s_branch .LBB10_184
.LBB10_183:                             ;   in Loop: Header=BB10_184 Depth=3
	v_ashrrev_i32_e32 v7, 31, v6
	v_lshlrev_b64 v[6:7], 3, v[6:7]
	v_mov_b32_e32 v17, s17
	v_add_co_u32_e32 v6, vcc, s16, v6
	v_addc_co_u32_e32 v7, vcc, v17, v7, vcc
	v_add_u32_e32 v16, 4, v16
	v_cmp_le_i32_e32 vcc, s27, v16
	s_or_b64 s[14:15], vcc, s[14:15]
	v_add_u32_e32 v15, 0x220, v15
	s_waitcnt lgkmcnt(0)
	global_store_dwordx2 v[6:7], v[4:5], off
	s_andn2_b64 exec, exec, s[14:15]
	s_cbranch_execz .LBB10_180
.LBB10_184:                             ;   Parent Loop BB10_159 Depth=1
                                        ;     Parent Loop BB10_181 Depth=2
                                        ; =>    This Inner Loop Header: Depth=3
	ds_read_b64 v[4:5], v15
	s_and_b64 vcc, exec, s[8:9]
	s_cbranch_vccz .LBB10_186
; %bb.185:                              ;   in Loop: Header=BB10_184 Depth=3
	v_add_u32_e32 v6, s37, v16
	v_mad_u64_u32 v[6:7], s[18:19], v6, s27, v[2:3]
	s_cbranch_execnz .LBB10_183
	s_branch .LBB10_187
.LBB10_186:                             ;   in Loop: Header=BB10_184 Depth=3
                                        ; implicit-def: $vgpr6
.LBB10_187:                             ;   in Loop: Header=BB10_184 Depth=3
	v_add_u32_e32 v6, v14, v16
	s_branch .LBB10_183
.LBB10_188:                             ;   in Loop: Header=BB10_159 Depth=1
	s_or_b64 exec, exec, s[6:7]
; %bb.189:                              ;   in Loop: Header=BB10_159 Depth=1
	s_add_i32 s20, s20, 1
	s_cmp_ge_i32 s20, s29
	v_add_u32_e32 v9, s21, v9
	s_cbranch_scc0 .LBB10_159
.LBB10_190:
	v_and_b32_e32 v1, 0x3ff, v0
	v_bfe_u32 v0, v0, 10, 10
	v_or_b32_e32 v0, v1, v0
	v_cmp_eq_u32_e32 vcc, 0, v0
	s_and_saveexec_b64 s[0:1], vcc
	s_cbranch_execz .LBB10_194
; %bb.191:
	s_add_u32 s0, s24, s30
	s_addc_u32 s1, s25, s31
	v_mov_b32_e32 v0, 0
	v_mov_b32_e32 v1, 1
	s_andn2_b64 vcc, exec, s[34:35]
	s_waitcnt vmcnt(0)
	global_store_dword v0, v1, s[0:1]
	s_cbranch_vccnz .LBB10_194
; %bb.192:
	v_mbcnt_lo_u32_b32 v0, exec_lo, 0
	v_mbcnt_hi_u32_b32 v0, exec_hi, v0
	v_cmp_eq_u32_e32 vcc, 0, v0
	s_and_b64 exec, exec, vcc
	s_cbranch_execz .LBB10_194
; %bb.193:
	s_add_i32 s0, s26, s28
	v_mov_b32_e32 v0, 0
	v_mov_b32_e32 v1, s0
	global_atomic_smin v0, v1, s[22:23]
.LBB10_194:
	s_endpgm
	.section	.rodata,"a",@progbits
	.p2align	6, 0x0
	.amdhsa_kernel _ZN9rocsparseL12bsrilu0_9_32ILj64ELj64ELj16EdEEv20rocsparse_direction_iPKiS3_PT2_S3_iPiS3_S6_21rocsparse_index_base_imNS_24const_host_device_scalarIfEENS8_IdEENS8_IS4_EEb
		.amdhsa_group_segment_fixed_size 4352
		.amdhsa_private_segment_fixed_size 0
		.amdhsa_kernarg_size 116
		.amdhsa_user_sgpr_count 6
		.amdhsa_user_sgpr_private_segment_buffer 1
		.amdhsa_user_sgpr_dispatch_ptr 0
		.amdhsa_user_sgpr_queue_ptr 0
		.amdhsa_user_sgpr_kernarg_segment_ptr 1
		.amdhsa_user_sgpr_dispatch_id 0
		.amdhsa_user_sgpr_flat_scratch_init 0
		.amdhsa_user_sgpr_kernarg_preload_length 0
		.amdhsa_user_sgpr_kernarg_preload_offset 0
		.amdhsa_user_sgpr_private_segment_size 0
		.amdhsa_uses_dynamic_stack 0
		.amdhsa_system_sgpr_private_segment_wavefront_offset 0
		.amdhsa_system_sgpr_workgroup_id_x 1
		.amdhsa_system_sgpr_workgroup_id_y 0
		.amdhsa_system_sgpr_workgroup_id_z 0
		.amdhsa_system_sgpr_workgroup_info 0
		.amdhsa_system_vgpr_workitem_id 1
		.amdhsa_next_free_vgpr 44
		.amdhsa_next_free_sgpr 70
		.amdhsa_accum_offset 44
		.amdhsa_reserve_vcc 1
		.amdhsa_reserve_flat_scratch 0
		.amdhsa_float_round_mode_32 0
		.amdhsa_float_round_mode_16_64 0
		.amdhsa_float_denorm_mode_32 3
		.amdhsa_float_denorm_mode_16_64 3
		.amdhsa_dx10_clamp 1
		.amdhsa_ieee_mode 1
		.amdhsa_fp16_overflow 0
		.amdhsa_tg_split 0
		.amdhsa_exception_fp_ieee_invalid_op 0
		.amdhsa_exception_fp_denorm_src 0
		.amdhsa_exception_fp_ieee_div_zero 0
		.amdhsa_exception_fp_ieee_overflow 0
		.amdhsa_exception_fp_ieee_underflow 0
		.amdhsa_exception_fp_ieee_inexact 0
		.amdhsa_exception_int_div_zero 0
	.end_amdhsa_kernel
	.section	.text._ZN9rocsparseL12bsrilu0_9_32ILj64ELj64ELj16EdEEv20rocsparse_direction_iPKiS3_PT2_S3_iPiS3_S6_21rocsparse_index_base_imNS_24const_host_device_scalarIfEENS8_IdEENS8_IS4_EEb,"axG",@progbits,_ZN9rocsparseL12bsrilu0_9_32ILj64ELj64ELj16EdEEv20rocsparse_direction_iPKiS3_PT2_S3_iPiS3_S6_21rocsparse_index_base_imNS_24const_host_device_scalarIfEENS8_IdEENS8_IS4_EEb,comdat
.Lfunc_end10:
	.size	_ZN9rocsparseL12bsrilu0_9_32ILj64ELj64ELj16EdEEv20rocsparse_direction_iPKiS3_PT2_S3_iPiS3_S6_21rocsparse_index_base_imNS_24const_host_device_scalarIfEENS8_IdEENS8_IS4_EEb, .Lfunc_end10-_ZN9rocsparseL12bsrilu0_9_32ILj64ELj64ELj16EdEEv20rocsparse_direction_iPKiS3_PT2_S3_iPiS3_S6_21rocsparse_index_base_imNS_24const_host_device_scalarIfEENS8_IdEENS8_IS4_EEb
                                        ; -- End function
	.section	.AMDGPU.csdata,"",@progbits
; Kernel info:
; codeLenInByte = 5472
; NumSgprs: 74
; NumVgprs: 44
; NumAgprs: 0
; TotalNumVgprs: 44
; ScratchSize: 0
; MemoryBound: 0
; FloatMode: 240
; IeeeMode: 1
; LDSByteSize: 4352 bytes/workgroup (compile time only)
; SGPRBlocks: 9
; VGPRBlocks: 5
; NumSGPRsForWavesPerEU: 74
; NumVGPRsForWavesPerEU: 44
; AccumOffset: 44
; Occupancy: 4
; WaveLimiterHint : 1
; COMPUTE_PGM_RSRC2:SCRATCH_EN: 0
; COMPUTE_PGM_RSRC2:USER_SGPR: 6
; COMPUTE_PGM_RSRC2:TRAP_HANDLER: 0
; COMPUTE_PGM_RSRC2:TGID_X_EN: 1
; COMPUTE_PGM_RSRC2:TGID_Y_EN: 0
; COMPUTE_PGM_RSRC2:TGID_Z_EN: 0
; COMPUTE_PGM_RSRC2:TIDIG_COMP_CNT: 1
; COMPUTE_PGM_RSRC3_GFX90A:ACCUM_OFFSET: 10
; COMPUTE_PGM_RSRC3_GFX90A:TG_SPLIT: 0
	.section	.text._ZN9rocsparseL12bsrilu0_9_32ILj64ELj64ELj32EdEEv20rocsparse_direction_iPKiS3_PT2_S3_iPiS3_S6_21rocsparse_index_base_imNS_24const_host_device_scalarIfEENS8_IdEENS8_IS4_EEb,"axG",@progbits,_ZN9rocsparseL12bsrilu0_9_32ILj64ELj64ELj32EdEEv20rocsparse_direction_iPKiS3_PT2_S3_iPiS3_S6_21rocsparse_index_base_imNS_24const_host_device_scalarIfEENS8_IdEENS8_IS4_EEb,comdat
	.globl	_ZN9rocsparseL12bsrilu0_9_32ILj64ELj64ELj32EdEEv20rocsparse_direction_iPKiS3_PT2_S3_iPiS3_S6_21rocsparse_index_base_imNS_24const_host_device_scalarIfEENS8_IdEENS8_IS4_EEb ; -- Begin function _ZN9rocsparseL12bsrilu0_9_32ILj64ELj64ELj32EdEEv20rocsparse_direction_iPKiS3_PT2_S3_iPiS3_S6_21rocsparse_index_base_imNS_24const_host_device_scalarIfEENS8_IdEENS8_IS4_EEb
	.p2align	8
	.type	_ZN9rocsparseL12bsrilu0_9_32ILj64ELj64ELj32EdEEv20rocsparse_direction_iPKiS3_PT2_S3_iPiS3_S6_21rocsparse_index_base_imNS_24const_host_device_scalarIfEENS8_IdEENS8_IS4_EEb,@function
_ZN9rocsparseL12bsrilu0_9_32ILj64ELj64ELj32EdEEv20rocsparse_direction_iPKiS3_PT2_S3_iPiS3_S6_21rocsparse_index_base_imNS_24const_host_device_scalarIfEENS8_IdEENS8_IS4_EEb: ; @_ZN9rocsparseL12bsrilu0_9_32ILj64ELj64ELj32EdEEv20rocsparse_direction_iPKiS3_PT2_S3_iPiS3_S6_21rocsparse_index_base_imNS_24const_host_device_scalarIfEENS8_IdEENS8_IS4_EEb
; %bb.0:
	s_load_dword s0, s[4:5], 0x70
	s_load_dwordx2 s[28:29], s[4:5], 0x48
	s_load_dwordx8 s[20:27], s[4:5], 0x50
	s_waitcnt lgkmcnt(0)
	s_bitcmp1_b32 s0, 0
	s_cselect_b64 s[0:1], -1, 0
	s_cmp_lg_u32 s29, 0
	s_cselect_b64 s[40:41], -1, 0
	s_cmp_eq_u32 s29, 0
	s_cselect_b64 s[2:3], -1, 0
	s_and_b64 s[8:9], s[2:3], exec
	s_cselect_b32 s10, 0, s24
	s_cselect_b32 s11, 0, s25
	s_or_b64 s[0:1], s[2:3], s[0:1]
	s_xor_b64 s[8:9], s[0:1], -1
	s_and_b64 vcc, exec, s[0:1]
	s_cbranch_vccnz .LBB11_2
; %bb.1:
	s_load_dword s0, s[22:23], 0x0
	s_mov_b64 s[10:11], s[24:25]
	s_waitcnt lgkmcnt(0)
	v_mov_b32_e32 v1, s0
	s_branch .LBB11_3
.LBB11_2:
	v_mov_b32_e32 v1, s22
	v_cndmask_b32_e64 v1, v1, 0, s[2:3]
.LBB11_3:
	v_cndmask_b32_e64 v2, 0, 1, s[8:9]
	v_cmp_ne_u32_e64 s[0:1], 1, v2
	s_andn2_b64 vcc, exec, s[8:9]
	v_pk_mov_b32 v[4:5], s[10:11], s[10:11] op_sel:[0,1]
	s_cbranch_vccnz .LBB11_5
; %bb.4:
	v_pk_mov_b32 v[2:3], s[24:25], s[24:25] op_sel:[0,1]
	flat_load_dwordx2 v[4:5], v[2:3]
.LBB11_5:
	s_and_b64 s[2:3], s[2:3], exec
	s_cselect_b32 s3, 0, s27
	s_cselect_b32 s2, 0, s26
	s_mov_b32 s7, 0
	s_and_b64 vcc, exec, s[0:1]
	v_pk_mov_b32 v[2:3], s[2:3], s[2:3] op_sel:[0,1]
	s_cbranch_vccnz .LBB11_7
; %bb.6:
	v_pk_mov_b32 v[2:3], s[26:27], s[26:27] op_sel:[0,1]
	flat_load_dwordx2 v[2:3], v[2:3]
.LBB11_7:
	s_load_dwordx4 s[24:27], s[4:5], 0x30
	s_load_dwordx2 s[22:23], s[4:5], 0x40
	s_lshl_b64 s[0:1], s[6:7], 2
	s_waitcnt lgkmcnt(0)
	s_add_u32 s0, s26, s0
	s_addc_u32 s1, s27, s1
	s_load_dword s26, s[0:1], 0x0
	s_load_dwordx8 s[12:19], s[4:5], 0x8
	s_waitcnt lgkmcnt(0)
	s_ashr_i32 s27, s26, 31
	s_lshl_b64 s[30:31], s[26:27], 2
	s_add_u32 s0, s18, s30
	s_addc_u32 s1, s19, s31
	s_load_dword s36, s[0:1], 0x0
	s_waitcnt lgkmcnt(0)
	s_cmp_eq_u32 s36, -1
	s_cbranch_scc1 .LBB11_123
; %bb.8:
	s_add_u32 s0, s12, s30
	s_addc_u32 s1, s13, s31
	s_load_dwordx2 s[2:3], s[0:1], 0x0
	s_load_dwordx2 s[38:39], s[4:5], 0x0
	s_load_dword s27, s[4:5], 0x28
	s_mov_b64 s[34:35], 0
	s_waitcnt lgkmcnt(0)
	s_sub_i32 s42, s2, s28
	s_sub_i32 s29, s3, s28
	s_cmp_ge_i32 s42, s36
	s_cbranch_scc1 .LBB11_112
; %bb.9:
	s_cmp_lg_u32 s38, 0
	s_cselect_b64 s[44:45], -1, 0
	s_cmp_gt_i32 s27, 0
	v_bfe_u32 v18, v0, 10, 10
	s_cselect_b64 s[46:47], -1, 0
	s_add_i32 s33, s39, 1
	v_and_b32_e32 v11, 0x3ff, v0
	v_lshlrev_b32_e32 v6, 5, v18
	s_cmp_lg_u32 s27, 1
	v_add3_u32 v6, v6, v11, s42
	s_cselect_b64 s[48:49], -1, 0
	s_and_b32 s37, s27, 0x7ffffffe
	v_ashrrev_i32_e32 v7, 31, v6
	s_bitcmp1_b32 s27, 0
	v_lshlrev_b64 v[8:9], 2, v[6:7]
	s_cselect_b64 s[50:51], -1, 0
	s_add_u32 s39, s12, 4
	v_mov_b32_e32 v7, s15
	v_add_co_u32_e32 v8, vcc, s14, v8
	s_addc_u32 s62, s13, 0
	s_mul_i32 s10, s27, s42
	s_movk_i32 s67, 0x108
	v_lshlrev_b32_e32 v12, 3, v11
	v_mov_b32_e32 v10, 0x218
	v_addc_co_u32_e32 v9, vcc, v7, v9, vcc
	s_add_u32 s63, s14, 0x100
	v_add_u32_e32 v7, s10, v11
	v_mad_u32_u24 v21, v18, s67, v12
	v_mad_u32_u24 v25, v18, s67, v10
	v_add_u32_e32 v10, 0x2208, v12
	v_add_u32_e32 v27, 0x2100, v12
	v_mbcnt_lo_u32_b32 v12, -1, 0
	v_cmp_gt_i32_e64 s[0:1], s27, v11
	v_cmp_le_i32_e64 s[2:3], s27, v11
	v_cmp_gt_i32_e64 s[4:5], s27, v18
	v_cmp_eq_u32_e64 s[6:7], 0, v18
	v_add_u32_e32 v19, 1, v18
	v_cmp_gt_i32_e64 s[8:9], s29, v6
	s_addc_u32 s64, s15, 0
	v_mul_lo_u32 v7, s27, v7
	s_mul_i32 s65, s27, s27
	s_lshl_b32 s66, s27, 5
	v_mul_u32_u24_e32 v20, 0x108, v18
	v_add_u32_e32 v22, 0x2100, v21
	v_add_u32_e32 v23, 0x2208, v21
	v_mad_u32_u24 v24, v18, s67, s67
	v_add_u32_e32 v26, 0x2310, v21
	v_mov_b32_e32 v28, 0
	v_mbcnt_hi_u32_b32 v29, -1, v12
	s_branch .LBB11_12
.LBB11_10:                              ;   in Loop: Header=BB11_12 Depth=1
	s_mov_b64 s[34:35], -1
.LBB11_11:                              ;   in Loop: Header=BB11_12 Depth=1
	s_add_i32 s42, s42, 1
	s_cmp_lt_i32 s42, s36
	s_cselect_b64 s[10:11], -1, 0
	s_and_b64 s[10:11], s[12:13], s[10:11]
	v_add_u32_e32 v7, s65, v7
	s_and_b64 vcc, exec, s[10:11]
	s_cbranch_vccz .LBB11_112
.LBB11_12:                              ; =>This Loop Header: Depth=1
                                        ;     Child Loop BB11_15 Depth 2
                                        ;       Child Loop BB11_18 Depth 3
                                        ;     Child Loop BB11_24 Depth 2
                                        ;     Child Loop BB11_28 Depth 2
                                        ;       Child Loop BB11_31 Depth 3
                                        ;     Child Loop BB11_39 Depth 2
                                        ;       Child Loop BB11_42 Depth 3
                                        ;         Child Loop BB11_46 Depth 4
                                        ;       Child Loop BB11_50 Depth 3
                                        ;         Child Loop BB11_54 Depth 4
                                        ;     Child Loop BB11_59 Depth 2
                                        ;       Child Loop BB11_63 Depth 3
                                        ;     Child Loop BB11_68 Depth 2
                                        ;       Child Loop BB11_71 Depth 3
	;; [unrolled: 2-line block ×3, first 2 shown]
                                        ;       Child Loop BB11_94 Depth 3
                                        ;         Child Loop BB11_97 Depth 4
                                        ;       Child Loop BB11_103 Depth 3
                                        ;         Child Loop BB11_106 Depth 4
                                        ;           Child Loop BB11_107 Depth 5
	s_ashr_i32 s43, s42, 31
	s_lshl_b64 s[10:11], s[42:43], 2
	s_add_u32 s10, s14, s10
	s_addc_u32 s11, s15, s11
	global_load_dword v12, v28, s[10:11]
	s_waitcnt vmcnt(0)
	v_readfirstlane_b32 s43, v12
	s_and_saveexec_b64 s[10:11], s[0:1]
	s_cbranch_execz .LBB11_22
; %bb.13:                               ;   in Loop: Header=BB11_12 Depth=1
	s_mul_i32 s58, s42, s27
	s_mov_b64 s[12:13], 0
	v_mov_b32_e32 v13, v22
	v_mov_b32_e32 v16, v7
	;; [unrolled: 1-line block ×3, first 2 shown]
	s_branch .LBB11_15
.LBB11_14:                              ;   in Loop: Header=BB11_15 Depth=2
	s_or_b64 exec, exec, s[52:53]
	v_add_u32_e32 v12, 32, v12
	v_cmp_le_i32_e32 vcc, s27, v12
	v_add_u32_e32 v16, s66, v16
	s_or_b64 s[12:13], vcc, s[12:13]
	v_add_u32_e32 v13, 0x100, v13
	s_andn2_b64 exec, exec, s[12:13]
	s_cbranch_execz .LBB11_22
.LBB11_15:                              ;   Parent Loop BB11_12 Depth=1
                                        ; =>  This Loop Header: Depth=2
                                        ;       Child Loop BB11_18 Depth 3
	s_and_saveexec_b64 s[52:53], s[4:5]
	s_cbranch_execz .LBB11_14
; %bb.16:                               ;   in Loop: Header=BB11_15 Depth=2
	s_mov_b64 s[54:55], 0
	v_mov_b32_e32 v17, v13
	v_mov_b32_e32 v30, v18
	s_branch .LBB11_18
.LBB11_17:                              ;   in Loop: Header=BB11_18 Depth=3
	v_ashrrev_i32_e32 v15, 31, v14
	v_lshlrev_b64 v[14:15], 3, v[14:15]
	v_mov_b32_e32 v31, s17
	v_add_co_u32_e32 v14, vcc, s16, v14
	v_addc_co_u32_e32 v15, vcc, v31, v15, vcc
	global_load_dwordx2 v[14:15], v[14:15], off
	v_add_u32_e32 v30, 2, v30
	v_cmp_le_i32_e32 vcc, s27, v30
	s_or_b64 s[54:55], vcc, s[54:55]
	s_waitcnt vmcnt(0)
	ds_write_b64 v17, v[14:15]
	v_add_u32_e32 v17, 0x210, v17
	s_andn2_b64 exec, exec, s[54:55]
	s_cbranch_execz .LBB11_14
.LBB11_18:                              ;   Parent Loop BB11_12 Depth=1
                                        ;     Parent Loop BB11_15 Depth=2
                                        ; =>    This Inner Loop Header: Depth=3
	s_and_b64 vcc, exec, s[44:45]
	s_cbranch_vccz .LBB11_20
; %bb.19:                               ;   in Loop: Header=BB11_18 Depth=3
	v_add_u32_e32 v14, s58, v30
	v_mad_u64_u32 v[14:15], s[56:57], v14, s27, v[12:13]
	s_cbranch_execnz .LBB11_17
	s_branch .LBB11_21
.LBB11_20:                              ;   in Loop: Header=BB11_18 Depth=3
                                        ; implicit-def: $vgpr14
.LBB11_21:                              ;   in Loop: Header=BB11_18 Depth=3
	v_add_u32_e32 v14, v16, v30
	s_branch .LBB11_17
.LBB11_22:                              ;   in Loop: Header=BB11_12 Depth=1
	s_or_b64 exec, exec, s[10:11]
	s_sub_i32 s10, s43, s28
	s_ashr_i32 s11, s10, 31
	s_lshl_b64 s[10:11], s[10:11], 2
	s_add_u32 s12, s18, s10
	s_addc_u32 s13, s19, s11
	global_load_dword v12, v28, s[12:13]
	s_waitcnt vmcnt(0)
	v_readfirstlane_b32 s43, v12
	v_cmp_eq_u32_e32 vcc, -1, v12
	s_cmp_lg_u32 s43, -1
	s_cselect_b64 s[12:13], -1, 0
	s_cbranch_vccnz .LBB11_10
; %bb.23:                               ;   in Loop: Header=BB11_12 Depth=1
	s_add_u32 s52, s39, s10
	s_addc_u32 s53, s62, s11
	global_load_dword v12, v28, s[52:53]
	s_add_u32 s10, s24, s10
	s_addc_u32 s11, s25, s11
	s_waitcnt vmcnt(0)
	v_readfirstlane_b32 s60, v12
.LBB11_24:                              ;   Parent Loop BB11_12 Depth=1
                                        ; =>  This Inner Loop Header: Depth=2
	global_load_dword v12, v28, s[10:11] glc
	s_waitcnt vmcnt(0)
	v_cmp_eq_u32_e32 vcc, 0, v12
	s_cbranch_vccnz .LBB11_24
; %bb.25:                               ;   in Loop: Header=BB11_12 Depth=1
	s_waitcnt lgkmcnt(0)
	buffer_wbinvl1_vol
	s_and_saveexec_b64 s[10:11], s[0:1]
	s_cbranch_execz .LBB11_35
; %bb.26:                               ;   in Loop: Header=BB11_12 Depth=1
	s_mul_i32 s61, s43, s27
	v_add_u32_e32 v12, s61, v11
	v_mul_lo_u32 v13, s27, v12
	s_mov_b64 s[52:53], 0
	v_mov_b32_e32 v16, v21
	v_mov_b32_e32 v12, v11
	s_branch .LBB11_28
.LBB11_27:                              ;   in Loop: Header=BB11_28 Depth=2
	s_or_b64 exec, exec, s[54:55]
	v_add_u32_e32 v12, 32, v12
	v_cmp_le_i32_e32 vcc, s27, v12
	v_add_u32_e32 v13, s66, v13
	s_or_b64 s[52:53], vcc, s[52:53]
	v_add_u32_e32 v16, 0x100, v16
	s_andn2_b64 exec, exec, s[52:53]
	s_cbranch_execz .LBB11_35
.LBB11_28:                              ;   Parent Loop BB11_12 Depth=1
                                        ; =>  This Loop Header: Depth=2
                                        ;       Child Loop BB11_31 Depth 3
	s_and_saveexec_b64 s[54:55], s[4:5]
	s_cbranch_execz .LBB11_27
; %bb.29:                               ;   in Loop: Header=BB11_28 Depth=2
	s_mov_b64 s[56:57], 0
	v_mov_b32_e32 v17, v16
	v_mov_b32_e32 v30, v18
	s_branch .LBB11_31
.LBB11_30:                              ;   in Loop: Header=BB11_31 Depth=3
	v_ashrrev_i32_e32 v15, 31, v14
	v_lshlrev_b64 v[14:15], 3, v[14:15]
	v_mov_b32_e32 v31, s17
	v_add_co_u32_e32 v14, vcc, s16, v14
	v_addc_co_u32_e32 v15, vcc, v31, v15, vcc
	global_load_dwordx2 v[14:15], v[14:15], off
	v_add_u32_e32 v30, 2, v30
	v_cmp_le_i32_e32 vcc, s27, v30
	s_or_b64 s[56:57], vcc, s[56:57]
	s_waitcnt vmcnt(0)
	ds_write_b64 v17, v[14:15]
	v_add_u32_e32 v17, 0x210, v17
	s_andn2_b64 exec, exec, s[56:57]
	s_cbranch_execz .LBB11_27
.LBB11_31:                              ;   Parent Loop BB11_12 Depth=1
                                        ;     Parent Loop BB11_28 Depth=2
                                        ; =>    This Inner Loop Header: Depth=3
	s_and_b64 vcc, exec, s[44:45]
	s_cbranch_vccz .LBB11_33
; %bb.32:                               ;   in Loop: Header=BB11_31 Depth=3
	v_add_u32_e32 v14, s61, v30
	v_mad_u64_u32 v[14:15], s[58:59], v14, s27, v[12:13]
	s_cbranch_execnz .LBB11_30
	s_branch .LBB11_34
.LBB11_33:                              ;   in Loop: Header=BB11_31 Depth=3
                                        ; implicit-def: $vgpr14
.LBB11_34:                              ;   in Loop: Header=BB11_31 Depth=3
	v_add_u32_e32 v14, v13, v30
	s_branch .LBB11_30
.LBB11_35:                              ;   in Loop: Header=BB11_12 Depth=1
	s_or_b64 exec, exec, s[10:11]
	s_andn2_b64 vcc, exec, s[46:47]
	s_waitcnt lgkmcnt(0)
	s_cbranch_vccnz .LBB11_65
; %bb.36:                               ;   in Loop: Header=BB11_12 Depth=1
	s_andn2_b64 vcc, exec, s[48:49]
	s_mov_b32 s54, 0
	s_cbranch_vccnz .LBB11_55
; %bb.37:                               ;   in Loop: Header=BB11_12 Depth=1
	s_mov_b32 s61, 0
	v_mov_b32_e32 v16, v26
	v_mov_b32_e32 v17, v25
	;; [unrolled: 1-line block ×4, first 2 shown]
	s_branch .LBB11_39
.LBB11_38:                              ;   in Loop: Header=BB11_39 Depth=2
	s_or_b64 exec, exec, s[52:53]
	s_add_i32 s61, s61, 2
	v_add_u32_e32 v31, 0x210, v31
	v_add_u32_e32 v30, 0x220, v30
	;; [unrolled: 1-line block ×4, first 2 shown]
	s_cmp_eq_u32 s61, s37
	s_mov_b32 s54, s37
	s_waitcnt lgkmcnt(0)
	s_cbranch_scc1 .LBB11_55
.LBB11_39:                              ;   Parent Loop BB11_12 Depth=1
                                        ; =>  This Loop Header: Depth=2
                                        ;       Child Loop BB11_42 Depth 3
                                        ;         Child Loop BB11_46 Depth 4
                                        ;       Child Loop BB11_50 Depth 3
                                        ;         Child Loop BB11_54 Depth 4
	s_lshl_b32 s10, s61, 3
	s_mul_i32 s68, s61, 0x108
	s_add_i32 s69, s68, s10
	s_and_saveexec_b64 s[52:53], s[0:1]
	s_cbranch_execz .LBB11_47
; %bb.40:                               ;   in Loop: Header=BB11_39 Depth=2
	v_mov_b32_e32 v12, s69
	ds_read_b64 v[12:13], v12
	v_add_u32_e32 v32, s61, v19
	v_cmp_gt_i32_e64 s[10:11], s27, v32
	s_mov_b64 s[54:55], 0
	v_mov_b32_e32 v33, v31
	v_mov_b32_e32 v34, v11
	s_branch .LBB11_42
.LBB11_41:                              ;   in Loop: Header=BB11_42 Depth=3
	s_or_b64 exec, exec, s[56:57]
	v_add_u32_e32 v34, 32, v34
	v_cmp_le_i32_e32 vcc, s27, v34
	s_or_b64 s[54:55], vcc, s[54:55]
	v_add_u32_e32 v33, 0x100, v33
	s_andn2_b64 exec, exec, s[54:55]
	s_cbranch_execz .LBB11_47
.LBB11_42:                              ;   Parent Loop BB11_12 Depth=1
                                        ;     Parent Loop BB11_39 Depth=2
                                        ; =>    This Loop Header: Depth=3
                                        ;         Child Loop BB11_46 Depth 4
	v_lshl_add_u32 v35, v34, 3, s68
	ds_read_b64 v[14:15], v35 offset:8448
	s_waitcnt lgkmcnt(0)
	v_div_scale_f64 v[36:37], s[56:57], v[12:13], v[12:13], v[14:15]
	v_rcp_f64_e32 v[38:39], v[36:37]
	v_div_scale_f64 v[40:41], vcc, v[14:15], v[12:13], v[14:15]
	v_fma_f64 v[42:43], -v[36:37], v[38:39], 1.0
	v_fmac_f64_e32 v[38:39], v[38:39], v[42:43]
	v_fma_f64 v[42:43], -v[36:37], v[38:39], 1.0
	v_fmac_f64_e32 v[38:39], v[38:39], v[42:43]
	v_mul_f64 v[42:43], v[40:41], v[38:39]
	v_fma_f64 v[36:37], -v[36:37], v[42:43], v[40:41]
	v_div_fmas_f64 v[36:37], v[36:37], v[38:39], v[42:43]
	v_div_fixup_f64 v[14:15], v[36:37], v[12:13], v[14:15]
	s_and_saveexec_b64 s[56:57], s[6:7]
	s_cbranch_execz .LBB11_44
; %bb.43:                               ;   in Loop: Header=BB11_42 Depth=3
	v_add_u32_e32 v35, 0x2100, v35
	ds_write_b64 v35, v[14:15]
.LBB11_44:                              ;   in Loop: Header=BB11_42 Depth=3
	s_or_b64 exec, exec, s[56:57]
	s_and_saveexec_b64 s[56:57], s[10:11]
	s_cbranch_execz .LBB11_41
; %bb.45:                               ;   in Loop: Header=BB11_42 Depth=3
	s_mov_b64 s[58:59], 0
	v_mov_b32_e32 v35, v30
	v_mov_b32_e32 v36, v33
	;; [unrolled: 1-line block ×3, first 2 shown]
.LBB11_46:                              ;   Parent Loop BB11_12 Depth=1
                                        ;     Parent Loop BB11_39 Depth=2
                                        ;       Parent Loop BB11_42 Depth=3
                                        ; =>      This Inner Loop Header: Depth=4
	ds_read_b64 v[38:39], v35
	ds_read_b64 v[40:41], v36
	v_add_u32_e32 v37, 2, v37
	v_cmp_le_i32_e32 vcc, s27, v37
	s_or_b64 s[58:59], vcc, s[58:59]
	v_add_u32_e32 v35, 0x210, v35
	s_waitcnt lgkmcnt(0)
	v_fma_f64 v[38:39], -v[14:15], v[38:39], v[40:41]
	ds_write_b64 v36, v[38:39]
	v_add_u32_e32 v36, 0x210, v36
	s_andn2_b64 exec, exec, s[58:59]
	s_cbranch_execnz .LBB11_46
	s_branch .LBB11_41
.LBB11_47:                              ;   in Loop: Header=BB11_39 Depth=2
	s_or_b64 exec, exec, s[52:53]
	s_waitcnt lgkmcnt(0)
	s_and_saveexec_b64 s[52:53], s[0:1]
	s_cbranch_execz .LBB11_38
; %bb.48:                               ;   in Loop: Header=BB11_39 Depth=2
	v_mov_b32_e32 v12, s69
	ds_read_b64 v[12:13], v12 offset:272
	v_add3_u32 v32, v19, s61, 1
	v_cmp_gt_i32_e64 s[10:11], s27, v32
	s_mov_b64 s[54:55], 0
	v_mov_b32_e32 v33, v16
	v_mov_b32_e32 v34, v11
	s_branch .LBB11_50
.LBB11_49:                              ;   in Loop: Header=BB11_50 Depth=3
	s_or_b64 exec, exec, s[56:57]
	v_add_u32_e32 v34, 32, v34
	v_cmp_le_i32_e32 vcc, s27, v34
	s_or_b64 s[54:55], vcc, s[54:55]
	v_add_u32_e32 v33, 0x100, v33
	s_andn2_b64 exec, exec, s[54:55]
	s_cbranch_execz .LBB11_38
.LBB11_50:                              ;   Parent Loop BB11_12 Depth=1
                                        ;     Parent Loop BB11_39 Depth=2
                                        ; =>    This Loop Header: Depth=3
                                        ;         Child Loop BB11_54 Depth 4
	v_lshl_add_u32 v35, v34, 3, s68
	ds_read_b64 v[14:15], v35 offset:8712
	s_waitcnt lgkmcnt(0)
	v_div_scale_f64 v[36:37], s[56:57], v[12:13], v[12:13], v[14:15]
	v_rcp_f64_e32 v[38:39], v[36:37]
	v_div_scale_f64 v[40:41], vcc, v[14:15], v[12:13], v[14:15]
	v_fma_f64 v[42:43], -v[36:37], v[38:39], 1.0
	v_fmac_f64_e32 v[38:39], v[38:39], v[42:43]
	v_fma_f64 v[42:43], -v[36:37], v[38:39], 1.0
	v_fmac_f64_e32 v[38:39], v[38:39], v[42:43]
	v_mul_f64 v[42:43], v[40:41], v[38:39]
	v_fma_f64 v[36:37], -v[36:37], v[42:43], v[40:41]
	v_div_fmas_f64 v[36:37], v[36:37], v[38:39], v[42:43]
	v_div_fixup_f64 v[14:15], v[36:37], v[12:13], v[14:15]
	s_and_saveexec_b64 s[56:57], s[6:7]
	s_cbranch_execz .LBB11_52
; %bb.51:                               ;   in Loop: Header=BB11_50 Depth=3
	v_add_u32_e32 v35, 0x2208, v35
	ds_write_b64 v35, v[14:15]
.LBB11_52:                              ;   in Loop: Header=BB11_50 Depth=3
	s_or_b64 exec, exec, s[56:57]
	s_and_saveexec_b64 s[56:57], s[10:11]
	s_cbranch_execz .LBB11_49
; %bb.53:                               ;   in Loop: Header=BB11_50 Depth=3
	s_mov_b64 s[58:59], 0
	v_mov_b32_e32 v35, v33
	v_mov_b32_e32 v36, v17
	;; [unrolled: 1-line block ×3, first 2 shown]
.LBB11_54:                              ;   Parent Loop BB11_12 Depth=1
                                        ;     Parent Loop BB11_39 Depth=2
                                        ;       Parent Loop BB11_50 Depth=3
                                        ; =>      This Inner Loop Header: Depth=4
	ds_read_b64 v[38:39], v36
	ds_read_b64 v[40:41], v35
	v_add_u32_e32 v37, 2, v37
	v_cmp_le_i32_e32 vcc, s27, v37
	v_add_u32_e32 v36, 0x210, v36
	s_or_b64 s[58:59], vcc, s[58:59]
	s_waitcnt lgkmcnt(0)
	v_fma_f64 v[38:39], -v[14:15], v[38:39], v[40:41]
	ds_write_b64 v35, v[38:39]
	v_add_u32_e32 v35, 0x210, v35
	s_andn2_b64 exec, exec, s[58:59]
	s_cbranch_execnz .LBB11_54
	s_branch .LBB11_49
.LBB11_55:                              ;   in Loop: Header=BB11_12 Depth=1
	s_andn2_b64 vcc, exec, s[50:51]
	s_cbranch_vccnz .LBB11_65
; %bb.56:                               ;   in Loop: Header=BB11_12 Depth=1
	s_and_saveexec_b64 s[52:53], s[0:1]
	s_cbranch_execz .LBB11_64
; %bb.57:                               ;   in Loop: Header=BB11_12 Depth=1
	s_lshl_b32 s10, s54, 3
	s_mul_i32 s61, s54, 0x108
	s_add_i32 s10, s61, s10
	v_mov_b32_e32 v12, s10
	ds_read_b64 v[12:13], v12
	v_add_u32_e32 v14, s54, v18
	v_add_u32_e32 v30, s54, v19
	v_mad_u64_u32 v[14:15], s[56:57], v14, s67, v[10:11]
	s_mulk_i32 s54, 0x110
	v_cmp_gt_i32_e64 s[10:11], s27, v30
	v_add_u32_e32 v15, s54, v24
	s_mov_b64 s[54:55], 0
	v_mov_b32_e32 v31, v11
	s_branch .LBB11_59
.LBB11_58:                              ;   in Loop: Header=BB11_59 Depth=2
	s_or_b64 exec, exec, s[56:57]
	v_add_u32_e32 v31, 32, v31
	v_cmp_le_i32_e32 vcc, s27, v31
	s_or_b64 s[54:55], vcc, s[54:55]
	v_add_u32_e32 v14, 0x100, v14
	s_andn2_b64 exec, exec, s[54:55]
	s_cbranch_execz .LBB11_64
.LBB11_59:                              ;   Parent Loop BB11_12 Depth=1
                                        ; =>  This Loop Header: Depth=2
                                        ;       Child Loop BB11_63 Depth 3
	v_lshl_add_u32 v32, v31, 3, s61
	ds_read_b64 v[16:17], v32 offset:8448
	s_waitcnt lgkmcnt(0)
	v_div_scale_f64 v[34:35], s[56:57], v[12:13], v[12:13], v[16:17]
	v_rcp_f64_e32 v[36:37], v[34:35]
	v_div_scale_f64 v[38:39], vcc, v[16:17], v[12:13], v[16:17]
	v_fma_f64 v[40:41], -v[34:35], v[36:37], 1.0
	v_fmac_f64_e32 v[36:37], v[36:37], v[40:41]
	v_fma_f64 v[40:41], -v[34:35], v[36:37], 1.0
	v_fmac_f64_e32 v[36:37], v[36:37], v[40:41]
	v_mul_f64 v[40:41], v[38:39], v[36:37]
	v_fma_f64 v[34:35], -v[34:35], v[40:41], v[38:39]
	v_div_fmas_f64 v[34:35], v[34:35], v[36:37], v[40:41]
	v_div_fixup_f64 v[16:17], v[34:35], v[12:13], v[16:17]
	s_and_saveexec_b64 s[56:57], s[6:7]
	s_cbranch_execz .LBB11_61
; %bb.60:                               ;   in Loop: Header=BB11_59 Depth=2
	v_add_u32_e32 v32, 0x2100, v32
	ds_write_b64 v32, v[16:17]
.LBB11_61:                              ;   in Loop: Header=BB11_59 Depth=2
	s_or_b64 exec, exec, s[56:57]
	s_and_saveexec_b64 s[56:57], s[10:11]
	s_cbranch_execz .LBB11_58
; %bb.62:                               ;   in Loop: Header=BB11_59 Depth=2
	s_mov_b64 s[58:59], 0
	v_mov_b32_e32 v32, v15
	v_mov_b32_e32 v33, v14
	;; [unrolled: 1-line block ×3, first 2 shown]
.LBB11_63:                              ;   Parent Loop BB11_12 Depth=1
                                        ;     Parent Loop BB11_59 Depth=2
                                        ; =>    This Inner Loop Header: Depth=3
	ds_read_b64 v[36:37], v32
	ds_read_b64 v[38:39], v33
	v_add_u32_e32 v34, 2, v34
	v_cmp_le_i32_e32 vcc, s27, v34
	s_or_b64 s[58:59], vcc, s[58:59]
	v_add_u32_e32 v32, 0x210, v32
	s_waitcnt lgkmcnt(0)
	v_fma_f64 v[36:37], -v[16:17], v[36:37], v[38:39]
	ds_write_b64 v33, v[36:37]
	v_add_u32_e32 v33, 0x210, v33
	s_andn2_b64 exec, exec, s[58:59]
	s_cbranch_execnz .LBB11_63
	s_branch .LBB11_58
.LBB11_64:                              ;   in Loop: Header=BB11_12 Depth=1
	s_or_b64 exec, exec, s[52:53]
	s_waitcnt lgkmcnt(0)
.LBB11_65:                              ;   in Loop: Header=BB11_12 Depth=1
	s_and_saveexec_b64 s[10:11], s[0:1]
	s_cbranch_execz .LBB11_75
; %bb.66:                               ;   in Loop: Header=BB11_12 Depth=1
	s_mul_i32 s61, s42, s27
	s_mov_b64 s[52:53], 0
	v_mov_b32_e32 v13, v22
	v_mov_b32_e32 v30, v7
	;; [unrolled: 1-line block ×3, first 2 shown]
	s_branch .LBB11_68
.LBB11_67:                              ;   in Loop: Header=BB11_68 Depth=2
	s_or_b64 exec, exec, s[54:55]
	v_add_u32_e32 v12, 32, v12
	v_cmp_le_i32_e32 vcc, s27, v12
	v_add_u32_e32 v30, s66, v30
	s_or_b64 s[52:53], vcc, s[52:53]
	v_add_u32_e32 v13, 0x100, v13
	s_andn2_b64 exec, exec, s[52:53]
	s_cbranch_execz .LBB11_75
.LBB11_68:                              ;   Parent Loop BB11_12 Depth=1
                                        ; =>  This Loop Header: Depth=2
                                        ;       Child Loop BB11_71 Depth 3
	s_and_saveexec_b64 s[54:55], s[4:5]
	s_cbranch_execz .LBB11_67
; %bb.69:                               ;   in Loop: Header=BB11_68 Depth=2
	s_mov_b64 s[56:57], 0
	v_mov_b32_e32 v31, v13
	v_mov_b32_e32 v32, v18
	s_branch .LBB11_71
.LBB11_70:                              ;   in Loop: Header=BB11_71 Depth=3
	v_ashrrev_i32_e32 v17, 31, v16
	v_lshlrev_b64 v[16:17], 3, v[16:17]
	v_mov_b32_e32 v33, s17
	v_add_co_u32_e32 v16, vcc, s16, v16
	v_addc_co_u32_e32 v17, vcc, v33, v17, vcc
	v_add_u32_e32 v32, 2, v32
	v_cmp_le_i32_e32 vcc, s27, v32
	s_or_b64 s[56:57], vcc, s[56:57]
	v_add_u32_e32 v31, 0x210, v31
	s_waitcnt lgkmcnt(0)
	global_store_dwordx2 v[16:17], v[14:15], off
	s_andn2_b64 exec, exec, s[56:57]
	s_cbranch_execz .LBB11_67
.LBB11_71:                              ;   Parent Loop BB11_12 Depth=1
                                        ;     Parent Loop BB11_68 Depth=2
                                        ; =>    This Inner Loop Header: Depth=3
	ds_read_b64 v[14:15], v31
	s_and_b64 vcc, exec, s[44:45]
	s_cbranch_vccz .LBB11_73
; %bb.72:                               ;   in Loop: Header=BB11_71 Depth=3
	v_add_u32_e32 v16, s61, v32
	v_mad_u64_u32 v[16:17], s[58:59], v16, s27, v[12:13]
	s_cbranch_execnz .LBB11_70
	s_branch .LBB11_74
.LBB11_73:                              ;   in Loop: Header=BB11_71 Depth=3
                                        ; implicit-def: $vgpr16
.LBB11_74:                              ;   in Loop: Header=BB11_71 Depth=3
	v_add_u32_e32 v16, v30, v32
	s_branch .LBB11_70
.LBB11_75:                              ;   in Loop: Header=BB11_12 Depth=1
	s_or_b64 exec, exec, s[10:11]
	s_sub_i32 s68, s60, s28
	s_add_i32 s10, s43, 1
	s_cmp_ge_i32 s10, s68
	s_cbranch_scc1 .LBB11_11
; %bb.76:                               ;   in Loop: Header=BB11_12 Depth=1
	s_mul_i32 s11, s27, s10
	v_add_u32_e32 v12, s11, v11
	v_mul_lo_u32 v30, s27, v12
	s_branch .LBB11_80
.LBB11_77:                              ;   in Loop: Header=BB11_80 Depth=2
	s_or_b64 exec, exec, s[54:55]
.LBB11_78:                              ;   in Loop: Header=BB11_80 Depth=2
	s_or_b64 exec, exec, s[52:53]
.LBB11_79:                              ;   in Loop: Header=BB11_80 Depth=2
	s_add_i32 s10, s10, 1
	s_cmp_lt_i32 s10, s68
	v_add_u32_e32 v30, s65, v30
	s_waitcnt lgkmcnt(0)
	s_cbranch_scc0 .LBB11_11
.LBB11_80:                              ;   Parent Loop BB11_12 Depth=1
                                        ; =>  This Loop Header: Depth=2
                                        ;       Child Loop BB11_85 Depth 3
                                        ;       Child Loop BB11_94 Depth 3
                                        ;         Child Loop BB11_97 Depth 4
                                        ;       Child Loop BB11_103 Depth 3
                                        ;         Child Loop BB11_106 Depth 4
                                        ;           Child Loop BB11_107 Depth 5
	s_ashr_i32 s11, s10, 31
	s_lshl_b64 s[52:53], s[10:11], 2
	s_add_u32 s52, s14, s52
	s_addc_u32 s53, s15, s53
	global_load_dword v12, v28, s[52:53]
	v_mov_b32_e32 v13, s33
	s_and_saveexec_b64 s[52:53], s[8:9]
	s_cbranch_execz .LBB11_82
; %bb.81:                               ;   in Loop: Header=BB11_80 Depth=2
	global_load_dword v13, v[8:9], off
	s_waitcnt vmcnt(0)
	v_subrev_u32_e32 v13, s28, v13
.LBB11_82:                              ;   in Loop: Header=BB11_80 Depth=2
	s_or_b64 exec, exec, s[52:53]
	s_waitcnt vmcnt(0)
	v_subrev_u32_e32 v14, s28, v12
	v_cmp_lt_i32_e32 vcc, v13, v14
	v_mov_b32_e32 v15, v6
	s_and_saveexec_b64 s[52:53], vcc
	s_cbranch_execz .LBB11_88
; %bb.83:                               ;   in Loop: Header=BB11_80 Depth=2
	s_mov_b64 s[54:55], 0
	v_mov_b32_e32 v12, v6
	s_branch .LBB11_85
.LBB11_84:                              ;   in Loop: Header=BB11_85 Depth=3
	s_or_b64 exec, exec, s[56:57]
	v_cmp_ge_i32_e32 vcc, v13, v14
	s_or_b64 s[54:55], vcc, s[54:55]
	v_mov_b32_e32 v12, v15
	s_andn2_b64 exec, exec, s[54:55]
	s_cbranch_execz .LBB11_87
.LBB11_85:                              ;   Parent Loop BB11_12 Depth=1
                                        ;     Parent Loop BB11_80 Depth=2
                                        ; =>    This Inner Loop Header: Depth=3
	v_add_u32_e32 v15, 64, v12
	v_cmp_gt_i32_e32 vcc, s29, v15
	v_mov_b32_e32 v13, s33
	s_and_saveexec_b64 s[56:57], vcc
	s_cbranch_execz .LBB11_84
; %bb.86:                               ;   in Loop: Header=BB11_85 Depth=3
	v_ashrrev_i32_e32 v13, 31, v12
	v_lshlrev_b64 v[12:13], 2, v[12:13]
	v_mov_b32_e32 v16, s64
	v_add_co_u32_e32 v12, vcc, s63, v12
	v_addc_co_u32_e32 v13, vcc, v16, v13, vcc
	global_load_dword v12, v[12:13], off
	s_waitcnt vmcnt(0)
	v_subrev_u32_e32 v13, s28, v12
	s_branch .LBB11_84
.LBB11_87:                              ;   in Loop: Header=BB11_80 Depth=2
	s_or_b64 exec, exec, s[54:55]
.LBB11_88:                              ;   in Loop: Header=BB11_80 Depth=2
	s_or_b64 exec, exec, s[52:53]
	v_cmp_eq_u32_e32 vcc, v13, v14
	s_cbranch_vccz .LBB11_79
; %bb.89:                               ;   in Loop: Header=BB11_80 Depth=2
	s_ff1_i32_b64 s11, vcc
	v_and_or_b32 v12, v29, 64, s11
	v_lshlrev_b32_e32 v12, 2, v12
	ds_bpermute_b32 v13, v12, v15
	s_and_saveexec_b64 s[52:53], s[2:3]
	s_xor_b64 s[52:53], exec, s[52:53]
	s_cbranch_execz .LBB11_91
; %bb.90:                               ;   in Loop: Header=BB11_80 Depth=2
	s_waitcnt lgkmcnt(0)
                                        ; implicit-def: $vgpr13
.LBB11_91:                              ;   in Loop: Header=BB11_80 Depth=2
	s_andn2_saveexec_b64 s[52:53], s[52:53]
	s_cbranch_execz .LBB11_78
; %bb.92:                               ;   in Loop: Header=BB11_80 Depth=2
	s_mul_i32 s11, s10, s27
	s_mov_b64 s[54:55], 0
	v_mov_b32_e32 v16, v21
	v_mov_b32_e32 v17, v30
	;; [unrolled: 1-line block ×3, first 2 shown]
	s_branch .LBB11_94
.LBB11_93:                              ;   in Loop: Header=BB11_94 Depth=3
	s_or_b64 exec, exec, s[56:57]
	v_add_u32_e32 v12, 32, v12
	v_cmp_le_i32_e32 vcc, s27, v12
	v_add_u32_e32 v17, s66, v17
	s_or_b64 s[54:55], vcc, s[54:55]
	v_add_u32_e32 v16, 0x100, v16
	s_andn2_b64 exec, exec, s[54:55]
	s_cbranch_execz .LBB11_101
.LBB11_94:                              ;   Parent Loop BB11_12 Depth=1
                                        ;     Parent Loop BB11_80 Depth=2
                                        ; =>    This Loop Header: Depth=3
                                        ;         Child Loop BB11_97 Depth 4
	s_and_saveexec_b64 s[56:57], s[4:5]
	s_cbranch_execz .LBB11_93
; %bb.95:                               ;   in Loop: Header=BB11_94 Depth=3
	s_mov_b64 s[58:59], 0
	v_mov_b32_e32 v31, v16
	v_mov_b32_e32 v32, v18
	s_branch .LBB11_97
.LBB11_96:                              ;   in Loop: Header=BB11_97 Depth=4
	v_ashrrev_i32_e32 v15, 31, v14
	v_lshlrev_b64 v[14:15], 3, v[14:15]
	v_mov_b32_e32 v33, s17
	v_add_co_u32_e32 v14, vcc, s16, v14
	v_addc_co_u32_e32 v15, vcc, v33, v15, vcc
	global_load_dwordx2 v[14:15], v[14:15], off
	v_add_u32_e32 v32, 2, v32
	v_cmp_le_i32_e32 vcc, s27, v32
	s_or_b64 s[58:59], vcc, s[58:59]
	s_waitcnt vmcnt(0)
	ds_write_b64 v31, v[14:15]
	v_add_u32_e32 v31, 0x210, v31
	s_andn2_b64 exec, exec, s[58:59]
	s_cbranch_execz .LBB11_93
.LBB11_97:                              ;   Parent Loop BB11_12 Depth=1
                                        ;     Parent Loop BB11_80 Depth=2
                                        ;       Parent Loop BB11_94 Depth=3
                                        ; =>      This Inner Loop Header: Depth=4
	s_and_b64 vcc, exec, s[44:45]
	s_cbranch_vccz .LBB11_99
; %bb.98:                               ;   in Loop: Header=BB11_97 Depth=4
	v_add_u32_e32 v14, s11, v32
	s_waitcnt lgkmcnt(0)
	v_mad_u64_u32 v[14:15], s[60:61], v14, s27, v[12:13]
	s_cbranch_execnz .LBB11_96
	s_branch .LBB11_100
.LBB11_99:                              ;   in Loop: Header=BB11_97 Depth=4
                                        ; implicit-def: $vgpr14
.LBB11_100:                             ;   in Loop: Header=BB11_97 Depth=4
	v_add_u32_e32 v14, v17, v32
	s_branch .LBB11_96
.LBB11_101:                             ;   in Loop: Header=BB11_80 Depth=2
	s_or_b64 exec, exec, s[54:55]
	s_waitcnt lgkmcnt(0)
	v_mul_lo_u32 v13, v13, s27
	s_mov_b64 s[54:55], 0
	v_mov_b32_e32 v31, v27
	v_mov_b32_e32 v12, v11
	s_branch .LBB11_103
.LBB11_102:                             ;   in Loop: Header=BB11_103 Depth=3
	s_or_b64 exec, exec, s[56:57]
	v_add_u32_e32 v12, 32, v12
	v_cmp_le_i32_e32 vcc, s27, v12
	s_or_b64 s[54:55], vcc, s[54:55]
	v_add_u32_e32 v31, 0x100, v31
	s_andn2_b64 exec, exec, s[54:55]
	s_cbranch_execz .LBB11_77
.LBB11_103:                             ;   Parent Loop BB11_12 Depth=1
                                        ;     Parent Loop BB11_80 Depth=2
                                        ; =>    This Loop Header: Depth=3
                                        ;         Child Loop BB11_106 Depth 4
                                        ;           Child Loop BB11_107 Depth 5
	s_and_saveexec_b64 s[56:57], s[4:5]
	s_cbranch_execz .LBB11_102
; %bb.104:                              ;   in Loop: Header=BB11_103 Depth=3
	v_add_u32_e32 v14, v12, v13
	v_mul_lo_u32 v32, v14, s27
	s_mov_b64 s[58:59], 0
	v_mov_b32_e32 v33, v20
	v_mov_b32_e32 v34, v18
	s_branch .LBB11_106
.LBB11_105:                             ;   in Loop: Header=BB11_106 Depth=4
	v_ashrrev_i32_e32 v17, 31, v16
	v_lshlrev_b64 v[16:17], 3, v[16:17]
	v_mov_b32_e32 v35, s17
	v_add_co_u32_e32 v16, vcc, s16, v16
	v_addc_co_u32_e32 v17, vcc, v35, v17, vcc
	global_load_dwordx2 v[36:37], v[16:17], off
	v_add_u32_e32 v34, 2, v34
	v_cmp_le_i32_e32 vcc, s27, v34
	s_or_b64 s[58:59], vcc, s[58:59]
	v_add_u32_e32 v33, 0x210, v33
	s_waitcnt vmcnt(0)
	v_add_f64 v[14:15], v[36:37], -v[14:15]
	global_store_dwordx2 v[16:17], v[14:15], off
	s_andn2_b64 exec, exec, s[58:59]
	s_cbranch_execz .LBB11_102
.LBB11_106:                             ;   Parent Loop BB11_12 Depth=1
                                        ;     Parent Loop BB11_80 Depth=2
                                        ;       Parent Loop BB11_103 Depth=3
                                        ; =>      This Loop Header: Depth=4
                                        ;           Child Loop BB11_107 Depth 5
	v_pk_mov_b32 v[14:15], 0, 0
	v_mov_b32_e32 v16, v31
	v_mov_b32_e32 v17, v33
	s_mov_b32 s11, s27
.LBB11_107:                             ;   Parent Loop BB11_12 Depth=1
                                        ;     Parent Loop BB11_80 Depth=2
                                        ;       Parent Loop BB11_103 Depth=3
                                        ;         Parent Loop BB11_106 Depth=4
                                        ; =>        This Inner Loop Header: Depth=5
	ds_read_b64 v[36:37], v16
	ds_read_b64 v[38:39], v17
	s_add_i32 s11, s11, -1
	v_add_u32_e32 v17, 8, v17
	v_add_u32_e32 v16, 0x108, v16
	s_cmp_eq_u32 s11, 0
	s_waitcnt lgkmcnt(0)
	v_fmac_f64_e32 v[14:15], v[36:37], v[38:39]
	s_cbranch_scc0 .LBB11_107
; %bb.108:                              ;   in Loop: Header=BB11_106 Depth=4
	s_and_b64 vcc, exec, s[44:45]
	s_cbranch_vccz .LBB11_110
; %bb.109:                              ;   in Loop: Header=BB11_106 Depth=4
	v_add_u32_e32 v16, v34, v13
	v_mad_u64_u32 v[16:17], s[60:61], v16, s27, v[12:13]
	s_cbranch_execnz .LBB11_105
	s_branch .LBB11_111
.LBB11_110:                             ;   in Loop: Header=BB11_106 Depth=4
                                        ; implicit-def: $vgpr16
.LBB11_111:                             ;   in Loop: Header=BB11_106 Depth=4
	v_add_u32_e32 v16, v34, v32
	s_branch .LBB11_105
.LBB11_112:
	s_ashr_i32 s37, s36, 31
	s_lshl_b64 s[0:1], s[36:37], 2
	s_add_u32 s0, s14, s0
	s_addc_u32 s1, s15, s1
	v_mov_b32_e32 v6, 0
	global_load_dword v6, v6, s[0:1]
	s_waitcnt vmcnt(0)
	v_subrev_u32_e32 v6, s28, v6
	v_cmp_ne_u32_e32 vcc, s26, v6
	s_cbranch_vccnz .LBB11_157
; %bb.113:
	v_and_b32_e32 v6, 0x3ff, v0
	v_cmp_gt_i32_e64 s[0:1], s27, v6
	s_and_saveexec_b64 s[4:5], s[0:1]
	s_cbranch_execz .LBB11_124
; %bb.114:
	s_mul_i32 s18, s36, s27
	v_add_u32_e32 v8, s18, v6
	v_bfe_u32 v7, v0, 10, 10
	s_cmp_lg_u32 s38, 0
	v_mul_lo_u32 v9, s27, v8
	v_lshlrev_b32_e32 v8, 3, v6
	s_movk_i32 s8, 0x108
	v_cmp_gt_u32_e64 s[2:3], s27, v7
	s_cselect_b64 s[6:7], -1, 0
	s_lshl_b32 s19, s27, 5
	v_mad_u32_u24 v12, v7, s8, v8
	s_mov_b64 s[8:9], 0
	v_mov_b32_e32 v8, v6
	s_branch .LBB11_116
.LBB11_115:                             ;   in Loop: Header=BB11_116 Depth=1
	s_or_b64 exec, exec, s[10:11]
	v_add_u32_e32 v8, 32, v8
	v_cmp_le_i32_e32 vcc, s27, v8
	v_add_u32_e32 v9, s19, v9
	s_or_b64 s[8:9], vcc, s[8:9]
	v_add_u32_e32 v12, 0x100, v12
	s_andn2_b64 exec, exec, s[8:9]
	s_cbranch_execz .LBB11_124
.LBB11_116:                             ; =>This Loop Header: Depth=1
                                        ;     Child Loop BB11_119 Depth 2
	s_and_saveexec_b64 s[10:11], s[2:3]
	s_cbranch_execz .LBB11_115
; %bb.117:                              ;   in Loop: Header=BB11_116 Depth=1
	s_mov_b64 s[12:13], 0
	v_mov_b32_e32 v13, v12
	v_mov_b32_e32 v14, v7
	s_branch .LBB11_119
.LBB11_118:                             ;   in Loop: Header=BB11_119 Depth=2
	v_ashrrev_i32_e32 v11, 31, v10
	v_lshlrev_b64 v[10:11], 3, v[10:11]
	v_mov_b32_e32 v15, s17
	v_add_co_u32_e32 v10, vcc, s16, v10
	v_addc_co_u32_e32 v11, vcc, v15, v11, vcc
	global_load_dwordx2 v[10:11], v[10:11], off
	v_add_u32_e32 v14, 2, v14
	v_cmp_le_i32_e32 vcc, s27, v14
	s_or_b64 s[12:13], vcc, s[12:13]
	s_waitcnt vmcnt(0)
	ds_write_b64 v13, v[10:11]
	v_add_u32_e32 v13, 0x210, v13
	s_andn2_b64 exec, exec, s[12:13]
	s_cbranch_execz .LBB11_115
.LBB11_119:                             ;   Parent Loop BB11_116 Depth=1
                                        ; =>  This Inner Loop Header: Depth=2
	s_and_b64 vcc, exec, s[6:7]
	s_cbranch_vccz .LBB11_121
; %bb.120:                              ;   in Loop: Header=BB11_119 Depth=2
	v_add_u32_e32 v10, s18, v14
	v_mad_u64_u32 v[10:11], s[14:15], v10, s27, v[8:9]
	s_cbranch_execnz .LBB11_118
	s_branch .LBB11_122
.LBB11_121:                             ;   in Loop: Header=BB11_119 Depth=2
                                        ; implicit-def: $vgpr10
.LBB11_122:                             ;   in Loop: Header=BB11_119 Depth=2
	v_add_u32_e32 v10, v9, v14
	s_branch .LBB11_118
.LBB11_123:
	s_mov_b64 s[34:35], -1
	s_branch .LBB11_190
.LBB11_124:
	s_or_b64 exec, exec, s[4:5]
	s_cmp_lt_i32 s27, 1
	s_waitcnt lgkmcnt(0)
	s_cbranch_scc1 .LBB11_146
; %bb.125:
	s_cmp_eq_u64 s[20:21], 8
	v_cvt_f64_f32_e32 v[8:9], v1
	v_bfe_u32 v1, v0, 10, 10
	s_cselect_b64 vcc, -1, 0
	v_or_b32_e32 v7, v6, v1
	v_cndmask_b32_e32 v4, v8, v4, vcc
	v_cmp_eq_u32_e64 s[2:3], 0, v7
	v_mov_b32_e32 v7, 0x110
	v_cndmask_b32_e64 v8, 0, 1, s[40:41]
	v_cndmask_b32_e32 v5, v9, v5, vcc
	s_mov_b32 s20, 0
	v_cmp_eq_u32_e64 s[4:5], 0, v1
	v_lshl_add_u32 v7, v6, 3, v7
	v_mul_u32_u24_e32 v12, 0x108, v1
	v_cmp_ne_u32_e64 s[6:7], 1, v8
.LBB11_126:                             ; =>This Loop Header: Depth=1
                                        ;     Child Loop BB11_138 Depth 2
                                        ;       Child Loop BB11_142 Depth 3
	s_lshl_b32 s8, s20, 3
	s_mul_i32 s21, s20, 0x108
	s_add_i32 s10, s21, s8
	v_mov_b32_e32 v8, s10
	s_waitcnt lgkmcnt(0)
	ds_read_b64 v[10:11], v8
	s_and_b64 vcc, exec, s[6:7]
	s_cbranch_vccnz .LBB11_130
; %bb.127:                              ;   in Loop: Header=BB11_126 Depth=1
	s_waitcnt lgkmcnt(0)
	v_xor_b32_e32 v8, 0x80000000, v11
	v_cmp_gt_f64_e32 vcc, 0, v[10:11]
	v_cndmask_b32_e32 v9, v11, v8, vcc
	v_cndmask_b32_e32 v8, v10, v10, vcc
	v_cmp_le_f64_e32 vcc, v[8:9], v[4:5]
	v_cndmask_b32_e32 v9, v11, v3, vcc
	v_cndmask_b32_e32 v8, v10, v2, vcc
	s_and_saveexec_b64 s[8:9], s[2:3]
	s_cbranch_execz .LBB11_129
; %bb.128:                              ;   in Loop: Header=BB11_126 Depth=1
	v_mov_b32_e32 v13, s10
	ds_write_b64 v13, v[8:9]
.LBB11_129:                             ;   in Loop: Header=BB11_126 Depth=1
	s_or_b64 exec, exec, s[8:9]
	s_mov_b64 s[10:11], -1
	s_mov_b64 s[8:9], 0
	s_cbranch_execz .LBB11_131
	s_branch .LBB11_132
.LBB11_130:                             ;   in Loop: Header=BB11_126 Depth=1
	s_mov_b64 s[10:11], 0
                                        ; implicit-def: $vgpr8_vgpr9
	s_mov_b64 s[8:9], 0
.LBB11_131:                             ;   in Loop: Header=BB11_126 Depth=1
	s_waitcnt lgkmcnt(0)
	v_cmp_neq_f64_e64 s[10:11], 0, v[10:11]
	s_mov_b64 s[8:9], -1
	v_pk_mov_b32 v[8:9], v[10:11], v[10:11] op_sel:[0,1]
.LBB11_132:                             ;   in Loop: Header=BB11_126 Depth=1
	s_andn2_b64 vcc, exec, s[10:11]
                                        ; implicit-def: $sgpr33
	s_cbranch_vccz .LBB11_135
; %bb.133:                              ;   in Loop: Header=BB11_126 Depth=1
	s_andn2_b64 vcc, exec, s[8:9]
	s_cbranch_vccz .LBB11_144
.LBB11_134:                             ;   in Loop: Header=BB11_126 Depth=1
	s_cmp_eq_u32 s33, s27
	s_cbranch_scc0 .LBB11_145
	s_branch .LBB11_146
.LBB11_135:                             ;   in Loop: Header=BB11_126 Depth=1
	s_add_i32 s33, s20, 1
	v_add_u32_e32 v13, s33, v6
	v_cmp_gt_i32_e32 vcc, s27, v13
	s_and_saveexec_b64 s[10:11], vcc
	s_cbranch_execz .LBB11_143
; %bb.136:                              ;   in Loop: Header=BB11_126 Depth=1
	v_add_u32_e32 v14, s33, v1
	s_mul_i32 s12, s20, 0x110
	v_cmp_gt_i32_e64 s[8:9], s27, v14
	v_add_u32_e32 v15, s12, v12
	s_mov_b64 s[12:13], 0
	v_mov_b32_e32 v16, v7
	s_branch .LBB11_138
.LBB11_137:                             ;   in Loop: Header=BB11_138 Depth=2
	s_or_b64 exec, exec, s[14:15]
	v_add_u32_e32 v13, 32, v13
	v_cmp_le_i32_e32 vcc, s27, v13
	s_or_b64 s[12:13], vcc, s[12:13]
	v_add_u32_e32 v16, 0x100, v16
	s_andn2_b64 exec, exec, s[12:13]
	s_cbranch_execz .LBB11_143
.LBB11_138:                             ;   Parent Loop BB11_126 Depth=1
                                        ; =>  This Loop Header: Depth=2
                                        ;       Child Loop BB11_142 Depth 3
	v_lshl_add_u32 v17, v13, 3, s21
	s_waitcnt lgkmcnt(0)
	ds_read_b64 v[10:11], v17
	s_waitcnt lgkmcnt(0)
	v_div_scale_f64 v[18:19], s[14:15], v[8:9], v[8:9], v[10:11]
	v_rcp_f64_e32 v[20:21], v[18:19]
	v_div_scale_f64 v[22:23], vcc, v[10:11], v[8:9], v[10:11]
	v_fma_f64 v[24:25], -v[18:19], v[20:21], 1.0
	v_fmac_f64_e32 v[20:21], v[20:21], v[24:25]
	v_fma_f64 v[24:25], -v[18:19], v[20:21], 1.0
	v_fmac_f64_e32 v[20:21], v[20:21], v[24:25]
	v_mul_f64 v[24:25], v[22:23], v[20:21]
	v_fma_f64 v[18:19], -v[18:19], v[24:25], v[22:23]
	v_div_fmas_f64 v[18:19], v[18:19], v[20:21], v[24:25]
	v_div_fixup_f64 v[10:11], v[18:19], v[8:9], v[10:11]
	s_and_saveexec_b64 s[14:15], s[4:5]
	s_cbranch_execz .LBB11_140
; %bb.139:                              ;   in Loop: Header=BB11_138 Depth=2
	ds_write_b64 v17, v[10:11]
.LBB11_140:                             ;   in Loop: Header=BB11_138 Depth=2
	s_or_b64 exec, exec, s[14:15]
	s_and_saveexec_b64 s[14:15], s[8:9]
	s_cbranch_execz .LBB11_137
; %bb.141:                              ;   in Loop: Header=BB11_138 Depth=2
	s_mov_b64 s[18:19], 0
	v_mov_b32_e32 v17, v15
	v_mov_b32_e32 v18, v14
.LBB11_142:                             ;   Parent Loop BB11_126 Depth=1
                                        ;     Parent Loop BB11_138 Depth=2
                                        ; =>    This Inner Loop Header: Depth=3
	v_add_u32_e32 v19, v17, v16
	ds_read_b64 v[20:21], v17 offset:264
	ds_read_b64 v[22:23], v19
	v_add_u32_e32 v18, 2, v18
	v_cmp_le_i32_e32 vcc, s27, v18
	v_add_u32_e32 v17, 0x210, v17
	s_or_b64 s[18:19], vcc, s[18:19]
	s_waitcnt lgkmcnt(0)
	v_fma_f64 v[20:21], -v[10:11], v[20:21], v[22:23]
	ds_write_b64 v19, v[20:21]
	s_andn2_b64 exec, exec, s[18:19]
	s_cbranch_execnz .LBB11_142
	s_branch .LBB11_137
.LBB11_143:                             ;   in Loop: Header=BB11_126 Depth=1
	s_or_b64 exec, exec, s[10:11]
	s_cbranch_execnz .LBB11_134
.LBB11_144:                             ;   in Loop: Header=BB11_126 Depth=1
	s_add_i32 s33, s20, 1
	s_mov_b64 s[34:35], -1
	s_cmp_eq_u32 s33, s27
	s_cbranch_scc1 .LBB11_146
.LBB11_145:                             ;   in Loop: Header=BB11_126 Depth=1
	s_mov_b32 s20, s33
	s_branch .LBB11_126
.LBB11_146:
	s_waitcnt lgkmcnt(0)
	s_and_saveexec_b64 s[2:3], s[0:1]
	s_cbranch_execz .LBB11_156
; %bb.147:
	s_mul_i32 s14, s36, s27
	v_add_u32_e32 v2, s14, v6
	v_bfe_u32 v1, v0, 10, 10
	s_cmp_lg_u32 s38, 0
	v_mul_lo_u32 v7, s27, v2
	v_lshlrev_b32_e32 v2, 3, v6
	s_movk_i32 s6, 0x108
	v_cmp_gt_u32_e64 s[0:1], s27, v1
	s_cselect_b64 s[4:5], -1, 0
	s_lshl_b32 s15, s27, 5
	v_mad_u32_u24 v8, v1, s6, v2
	s_mov_b64 s[6:7], 0
	s_branch .LBB11_149
.LBB11_148:                             ;   in Loop: Header=BB11_149 Depth=1
	s_or_b64 exec, exec, s[8:9]
	v_add_u32_e32 v6, 32, v6
	v_cmp_le_i32_e32 vcc, s27, v6
	v_add_u32_e32 v7, s15, v7
	s_or_b64 s[6:7], vcc, s[6:7]
	v_add_u32_e32 v8, 0x100, v8
	s_andn2_b64 exec, exec, s[6:7]
	s_cbranch_execz .LBB11_156
.LBB11_149:                             ; =>This Loop Header: Depth=1
                                        ;     Child Loop BB11_152 Depth 2
	s_and_saveexec_b64 s[8:9], s[0:1]
	s_cbranch_execz .LBB11_148
; %bb.150:                              ;   in Loop: Header=BB11_149 Depth=1
	s_mov_b64 s[10:11], 0
	v_mov_b32_e32 v9, v8
	v_mov_b32_e32 v10, v1
	s_branch .LBB11_152
.LBB11_151:                             ;   in Loop: Header=BB11_152 Depth=2
	v_ashrrev_i32_e32 v5, 31, v4
	v_lshlrev_b64 v[4:5], 3, v[4:5]
	v_mov_b32_e32 v11, s17
	v_add_co_u32_e32 v4, vcc, s16, v4
	v_addc_co_u32_e32 v5, vcc, v11, v5, vcc
	v_add_u32_e32 v10, 2, v10
	v_cmp_le_i32_e32 vcc, s27, v10
	s_or_b64 s[10:11], vcc, s[10:11]
	v_add_u32_e32 v9, 0x210, v9
	s_waitcnt lgkmcnt(0)
	global_store_dwordx2 v[4:5], v[2:3], off
	s_andn2_b64 exec, exec, s[10:11]
	s_cbranch_execz .LBB11_148
.LBB11_152:                             ;   Parent Loop BB11_149 Depth=1
                                        ; =>  This Inner Loop Header: Depth=2
	ds_read_b64 v[2:3], v9
	s_and_b64 vcc, exec, s[4:5]
	s_cbranch_vccz .LBB11_154
; %bb.153:                              ;   in Loop: Header=BB11_152 Depth=2
	v_add_u32_e32 v4, s14, v10
	v_mad_u64_u32 v[4:5], s[12:13], v4, s27, v[6:7]
	s_cbranch_execnz .LBB11_151
	s_branch .LBB11_155
.LBB11_154:                             ;   in Loop: Header=BB11_152 Depth=2
                                        ; implicit-def: $vgpr4
.LBB11_155:                             ;   in Loop: Header=BB11_152 Depth=2
	v_add_u32_e32 v4, v7, v10
	s_branch .LBB11_151
.LBB11_156:
	s_or_b64 exec, exec, s[2:3]
.LBB11_157:
	s_add_i32 s20, s36, 1
	s_cmp_ge_i32 s20, s29
	s_cbranch_scc1 .LBB11_190
; %bb.158:
	v_and_b32_e32 v1, 0x3ff, v0
	s_mul_i32 s4, s27, s20
	v_bfe_u32 v3, v0, 10, 10
	s_cmp_lg_u32 s38, 0
	v_add_u32_e32 v2, s4, v1
	s_cselect_b64 s[8:9], -1, 0
	s_cmp_gt_i32 s27, 0
	v_mul_lo_u32 v9, s27, v2
	v_mul_u32_u24_e32 v2, 0x108, v3
	v_lshlrev_b32_e32 v4, 3, v1
	s_movk_i32 s6, 0x2100
	s_cselect_b64 s[4:5], -1, 0
	v_add3_u32 v10, v2, v4, s6
	v_mul_u32_u24_e32 v2, 0x108, v1
	v_lshlrev_b32_e32 v4, 3, v3
	s_movk_i32 s6, 0x2108
	v_add3_u32 v11, v4, v2, s6
	v_cndmask_b32_e64 v2, 0, 1, s[4:5]
	v_cmp_gt_i32_e64 s[0:1], s27, v1
	v_cmp_gt_i32_e64 s[2:3], s27, v3
	v_add_u32_e32 v8, 1, v3
	s_mul_i32 s21, s27, s27
	s_lshl_b32 s33, s27, 5
	s_movk_i32 s36, 0x108
	v_add_u32_e32 v12, 8, v4
	v_cmp_ne_u32_e64 s[4:5], 1, v2
.LBB11_159:                             ; =>This Loop Header: Depth=1
                                        ;     Child Loop BB11_162 Depth 2
                                        ;       Child Loop BB11_165 Depth 3
                                        ;     Child Loop BB11_172 Depth 2
                                        ;       Child Loop BB11_175 Depth 3
                                        ;         Child Loop BB11_177 Depth 4
                                        ;     Child Loop BB11_181 Depth 2
                                        ;       Child Loop BB11_184 Depth 3
	s_mul_i32 s37, s20, s27
	s_waitcnt lgkmcnt(0)
	s_and_saveexec_b64 s[6:7], s[0:1]
	s_cbranch_execz .LBB11_169
; %bb.160:                              ;   in Loop: Header=BB11_159 Depth=1
	s_mov_b64 s[10:11], 0
	v_mov_b32_e32 v6, v10
	v_mov_b32_e32 v7, v9
	;; [unrolled: 1-line block ×3, first 2 shown]
	s_branch .LBB11_162
.LBB11_161:                             ;   in Loop: Header=BB11_162 Depth=2
	s_or_b64 exec, exec, s[12:13]
	v_add_u32_e32 v2, 32, v2
	v_cmp_le_i32_e32 vcc, s27, v2
	v_add_u32_e32 v7, s33, v7
	s_or_b64 s[10:11], vcc, s[10:11]
	v_add_u32_e32 v6, 0x100, v6
	s_andn2_b64 exec, exec, s[10:11]
	s_cbranch_execz .LBB11_169
.LBB11_162:                             ;   Parent Loop BB11_159 Depth=1
                                        ; =>  This Loop Header: Depth=2
                                        ;       Child Loop BB11_165 Depth 3
	s_and_saveexec_b64 s[12:13], s[2:3]
	s_cbranch_execz .LBB11_161
; %bb.163:                              ;   in Loop: Header=BB11_162 Depth=2
	s_mov_b64 s[14:15], 0
	v_mov_b32_e32 v13, v6
	v_mov_b32_e32 v14, v3
	s_branch .LBB11_165
.LBB11_164:                             ;   in Loop: Header=BB11_165 Depth=3
	v_ashrrev_i32_e32 v5, 31, v4
	v_lshlrev_b64 v[4:5], 3, v[4:5]
	v_mov_b32_e32 v15, s17
	v_add_co_u32_e32 v4, vcc, s16, v4
	v_addc_co_u32_e32 v5, vcc, v15, v5, vcc
	global_load_dwordx2 v[4:5], v[4:5], off
	v_add_u32_e32 v14, 2, v14
	v_cmp_le_i32_e32 vcc, s27, v14
	s_or_b64 s[14:15], vcc, s[14:15]
	s_waitcnt vmcnt(0)
	ds_write_b64 v13, v[4:5]
	v_add_u32_e32 v13, 0x210, v13
	s_andn2_b64 exec, exec, s[14:15]
	s_cbranch_execz .LBB11_161
.LBB11_165:                             ;   Parent Loop BB11_159 Depth=1
                                        ;     Parent Loop BB11_162 Depth=2
                                        ; =>    This Inner Loop Header: Depth=3
	s_and_b64 vcc, exec, s[8:9]
	s_cbranch_vccz .LBB11_167
; %bb.166:                              ;   in Loop: Header=BB11_165 Depth=3
	v_add_u32_e32 v4, s37, v14
	v_mad_u64_u32 v[4:5], s[18:19], v4, s27, v[2:3]
	s_cbranch_execnz .LBB11_164
	s_branch .LBB11_168
.LBB11_167:                             ;   in Loop: Header=BB11_165 Depth=3
                                        ; implicit-def: $vgpr4
.LBB11_168:                             ;   in Loop: Header=BB11_165 Depth=3
	v_add_u32_e32 v4, v7, v14
	s_branch .LBB11_164
.LBB11_169:                             ;   in Loop: Header=BB11_159 Depth=1
	s_or_b64 exec, exec, s[6:7]
	s_and_b64 vcc, exec, s[4:5]
	s_waitcnt lgkmcnt(0)
	s_cbranch_vccnz .LBB11_178
; %bb.170:                              ;   in Loop: Header=BB11_159 Depth=1
	s_mov_b32 s38, 0
	v_mov_b32_e32 v2, v12
	v_mov_b32_e32 v4, v11
	s_branch .LBB11_172
.LBB11_171:                             ;   in Loop: Header=BB11_172 Depth=2
	s_or_b64 exec, exec, s[10:11]
	s_add_i32 s38, s38, 1
	v_add_u32_e32 v4, 8, v4
	s_cmp_eq_u32 s38, s27
	v_add_u32_e32 v2, 0x110, v2
	s_cbranch_scc1 .LBB11_178
.LBB11_172:                             ;   Parent Loop BB11_159 Depth=1
                                        ; =>  This Loop Header: Depth=2
                                        ;       Child Loop BB11_175 Depth 3
                                        ;         Child Loop BB11_177 Depth 4
	s_and_saveexec_b64 s[10:11], s[0:1]
	s_cbranch_execz .LBB11_171
; %bb.173:                              ;   in Loop: Header=BB11_172 Depth=2
	v_add_u32_e32 v5, s38, v8
	s_lshl_b32 s39, s38, 3
	v_cmp_gt_i32_e32 vcc, s27, v5
	s_mov_b64 s[12:13], 0
	s_addk_i32 s39, 0x2100
	v_mov_b32_e32 v6, v4
	v_mov_b32_e32 v7, v1
	s_branch .LBB11_175
.LBB11_174:                             ;   in Loop: Header=BB11_175 Depth=3
	s_or_b64 exec, exec, s[14:15]
	v_add_u32_e32 v7, 32, v7
	v_cmp_le_i32_e64 s[6:7], s27, v7
	s_or_b64 s[12:13], s[6:7], s[12:13]
	v_add_u32_e32 v6, 0x2100, v6
	s_andn2_b64 exec, exec, s[12:13]
	s_cbranch_execz .LBB11_171
.LBB11_175:                             ;   Parent Loop BB11_159 Depth=1
                                        ;     Parent Loop BB11_172 Depth=2
                                        ; =>    This Loop Header: Depth=3
                                        ;         Child Loop BB11_177 Depth 4
	s_and_saveexec_b64 s[14:15], vcc
	s_cbranch_execz .LBB11_174
; %bb.176:                              ;   in Loop: Header=BB11_175 Depth=3
	v_mul_lo_u32 v13, v7, s36
	v_add_u32_e32 v13, s39, v13
	s_mov_b64 s[18:19], 0
	v_mov_b32_e32 v14, v2
	v_mov_b32_e32 v15, v6
	v_mov_b32_e32 v16, v5
.LBB11_177:                             ;   Parent Loop BB11_159 Depth=1
                                        ;     Parent Loop BB11_172 Depth=2
                                        ;       Parent Loop BB11_175 Depth=3
                                        ; =>      This Inner Loop Header: Depth=4
	ds_read_b64 v[18:19], v14
	ds_read_b64 v[20:21], v13
	;; [unrolled: 1-line block ×3, first 2 shown]
	v_add_u32_e32 v16, 2, v16
	v_cmp_le_i32_e64 s[6:7], s27, v16
	s_or_b64 s[18:19], s[6:7], s[18:19]
	v_add_u32_e32 v14, 16, v14
	s_waitcnt lgkmcnt(0)
	v_fma_f64 v[18:19], -v[18:19], v[20:21], v[22:23]
	ds_write_b64 v15, v[18:19]
	v_add_u32_e32 v15, 16, v15
	s_andn2_b64 exec, exec, s[18:19]
	s_cbranch_execnz .LBB11_177
	s_branch .LBB11_174
.LBB11_178:                             ;   in Loop: Header=BB11_159 Depth=1
	s_waitcnt lgkmcnt(0)
	s_and_saveexec_b64 s[6:7], s[0:1]
	s_cbranch_execz .LBB11_188
; %bb.179:                              ;   in Loop: Header=BB11_159 Depth=1
	s_mov_b64 s[10:11], 0
	v_mov_b32_e32 v13, v10
	v_mov_b32_e32 v14, v9
	;; [unrolled: 1-line block ×3, first 2 shown]
	s_branch .LBB11_181
.LBB11_180:                             ;   in Loop: Header=BB11_181 Depth=2
	s_or_b64 exec, exec, s[12:13]
	v_add_u32_e32 v2, 32, v2
	v_cmp_le_i32_e32 vcc, s27, v2
	v_add_u32_e32 v14, s33, v14
	s_or_b64 s[10:11], vcc, s[10:11]
	v_add_u32_e32 v13, 0x100, v13
	s_andn2_b64 exec, exec, s[10:11]
	s_cbranch_execz .LBB11_188
.LBB11_181:                             ;   Parent Loop BB11_159 Depth=1
                                        ; =>  This Loop Header: Depth=2
                                        ;       Child Loop BB11_184 Depth 3
	s_and_saveexec_b64 s[12:13], s[2:3]
	s_cbranch_execz .LBB11_180
; %bb.182:                              ;   in Loop: Header=BB11_181 Depth=2
	s_mov_b64 s[14:15], 0
	v_mov_b32_e32 v15, v13
	v_mov_b32_e32 v16, v3
	s_branch .LBB11_184
.LBB11_183:                             ;   in Loop: Header=BB11_184 Depth=3
	v_ashrrev_i32_e32 v7, 31, v6
	v_lshlrev_b64 v[6:7], 3, v[6:7]
	v_mov_b32_e32 v17, s17
	v_add_co_u32_e32 v6, vcc, s16, v6
	v_addc_co_u32_e32 v7, vcc, v17, v7, vcc
	v_add_u32_e32 v16, 2, v16
	v_cmp_le_i32_e32 vcc, s27, v16
	s_or_b64 s[14:15], vcc, s[14:15]
	v_add_u32_e32 v15, 0x210, v15
	s_waitcnt lgkmcnt(0)
	global_store_dwordx2 v[6:7], v[4:5], off
	s_andn2_b64 exec, exec, s[14:15]
	s_cbranch_execz .LBB11_180
.LBB11_184:                             ;   Parent Loop BB11_159 Depth=1
                                        ;     Parent Loop BB11_181 Depth=2
                                        ; =>    This Inner Loop Header: Depth=3
	ds_read_b64 v[4:5], v15
	s_and_b64 vcc, exec, s[8:9]
	s_cbranch_vccz .LBB11_186
; %bb.185:                              ;   in Loop: Header=BB11_184 Depth=3
	v_add_u32_e32 v6, s37, v16
	v_mad_u64_u32 v[6:7], s[18:19], v6, s27, v[2:3]
	s_cbranch_execnz .LBB11_183
	s_branch .LBB11_187
.LBB11_186:                             ;   in Loop: Header=BB11_184 Depth=3
                                        ; implicit-def: $vgpr6
.LBB11_187:                             ;   in Loop: Header=BB11_184 Depth=3
	v_add_u32_e32 v6, v14, v16
	s_branch .LBB11_183
.LBB11_188:                             ;   in Loop: Header=BB11_159 Depth=1
	s_or_b64 exec, exec, s[6:7]
; %bb.189:                              ;   in Loop: Header=BB11_159 Depth=1
	s_add_i32 s20, s20, 1
	s_cmp_ge_i32 s20, s29
	v_add_u32_e32 v9, s21, v9
	s_cbranch_scc0 .LBB11_159
.LBB11_190:
	v_and_b32_e32 v1, 0x3ff, v0
	v_bfe_u32 v0, v0, 10, 10
	v_or_b32_e32 v0, v1, v0
	v_cmp_eq_u32_e32 vcc, 0, v0
	s_and_saveexec_b64 s[0:1], vcc
	s_cbranch_execz .LBB11_194
; %bb.191:
	s_add_u32 s0, s24, s30
	s_addc_u32 s1, s25, s31
	v_mov_b32_e32 v0, 0
	v_mov_b32_e32 v1, 1
	s_andn2_b64 vcc, exec, s[34:35]
	s_waitcnt vmcnt(0)
	global_store_dword v0, v1, s[0:1]
	s_cbranch_vccnz .LBB11_194
; %bb.192:
	v_mbcnt_lo_u32_b32 v0, exec_lo, 0
	v_mbcnt_hi_u32_b32 v0, exec_hi, v0
	v_cmp_eq_u32_e32 vcc, 0, v0
	s_and_b64 exec, exec, vcc
	s_cbranch_execz .LBB11_194
; %bb.193:
	s_add_i32 s0, s26, s28
	v_mov_b32_e32 v0, 0
	v_mov_b32_e32 v1, s0
	global_atomic_smin v0, v1, s[22:23]
.LBB11_194:
	s_endpgm
	.section	.rodata,"a",@progbits
	.p2align	6, 0x0
	.amdhsa_kernel _ZN9rocsparseL12bsrilu0_9_32ILj64ELj64ELj32EdEEv20rocsparse_direction_iPKiS3_PT2_S3_iPiS3_S6_21rocsparse_index_base_imNS_24const_host_device_scalarIfEENS8_IdEENS8_IS4_EEb
		.amdhsa_group_segment_fixed_size 16896
		.amdhsa_private_segment_fixed_size 0
		.amdhsa_kernarg_size 116
		.amdhsa_user_sgpr_count 6
		.amdhsa_user_sgpr_private_segment_buffer 1
		.amdhsa_user_sgpr_dispatch_ptr 0
		.amdhsa_user_sgpr_queue_ptr 0
		.amdhsa_user_sgpr_kernarg_segment_ptr 1
		.amdhsa_user_sgpr_dispatch_id 0
		.amdhsa_user_sgpr_flat_scratch_init 0
		.amdhsa_user_sgpr_kernarg_preload_length 0
		.amdhsa_user_sgpr_kernarg_preload_offset 0
		.amdhsa_user_sgpr_private_segment_size 0
		.amdhsa_uses_dynamic_stack 0
		.amdhsa_system_sgpr_private_segment_wavefront_offset 0
		.amdhsa_system_sgpr_workgroup_id_x 1
		.amdhsa_system_sgpr_workgroup_id_y 0
		.amdhsa_system_sgpr_workgroup_id_z 0
		.amdhsa_system_sgpr_workgroup_info 0
		.amdhsa_system_vgpr_workitem_id 1
		.amdhsa_next_free_vgpr 44
		.amdhsa_next_free_sgpr 70
		.amdhsa_accum_offset 44
		.amdhsa_reserve_vcc 1
		.amdhsa_reserve_flat_scratch 0
		.amdhsa_float_round_mode_32 0
		.amdhsa_float_round_mode_16_64 0
		.amdhsa_float_denorm_mode_32 3
		.amdhsa_float_denorm_mode_16_64 3
		.amdhsa_dx10_clamp 1
		.amdhsa_ieee_mode 1
		.amdhsa_fp16_overflow 0
		.amdhsa_tg_split 0
		.amdhsa_exception_fp_ieee_invalid_op 0
		.amdhsa_exception_fp_denorm_src 0
		.amdhsa_exception_fp_ieee_div_zero 0
		.amdhsa_exception_fp_ieee_overflow 0
		.amdhsa_exception_fp_ieee_underflow 0
		.amdhsa_exception_fp_ieee_inexact 0
		.amdhsa_exception_int_div_zero 0
	.end_amdhsa_kernel
	.section	.text._ZN9rocsparseL12bsrilu0_9_32ILj64ELj64ELj32EdEEv20rocsparse_direction_iPKiS3_PT2_S3_iPiS3_S6_21rocsparse_index_base_imNS_24const_host_device_scalarIfEENS8_IdEENS8_IS4_EEb,"axG",@progbits,_ZN9rocsparseL12bsrilu0_9_32ILj64ELj64ELj32EdEEv20rocsparse_direction_iPKiS3_PT2_S3_iPiS3_S6_21rocsparse_index_base_imNS_24const_host_device_scalarIfEENS8_IdEENS8_IS4_EEb,comdat
.Lfunc_end11:
	.size	_ZN9rocsparseL12bsrilu0_9_32ILj64ELj64ELj32EdEEv20rocsparse_direction_iPKiS3_PT2_S3_iPiS3_S6_21rocsparse_index_base_imNS_24const_host_device_scalarIfEENS8_IdEENS8_IS4_EEb, .Lfunc_end11-_ZN9rocsparseL12bsrilu0_9_32ILj64ELj64ELj32EdEEv20rocsparse_direction_iPKiS3_PT2_S3_iPiS3_S6_21rocsparse_index_base_imNS_24const_host_device_scalarIfEENS8_IdEENS8_IS4_EEb
                                        ; -- End function
	.section	.AMDGPU.csdata,"",@progbits
; Kernel info:
; codeLenInByte = 5472
; NumSgprs: 74
; NumVgprs: 44
; NumAgprs: 0
; TotalNumVgprs: 44
; ScratchSize: 0
; MemoryBound: 0
; FloatMode: 240
; IeeeMode: 1
; LDSByteSize: 16896 bytes/workgroup (compile time only)
; SGPRBlocks: 9
; VGPRBlocks: 5
; NumSGPRsForWavesPerEU: 74
; NumVGPRsForWavesPerEU: 44
; AccumOffset: 44
; Occupancy: 1
; WaveLimiterHint : 1
; COMPUTE_PGM_RSRC2:SCRATCH_EN: 0
; COMPUTE_PGM_RSRC2:USER_SGPR: 6
; COMPUTE_PGM_RSRC2:TRAP_HANDLER: 0
; COMPUTE_PGM_RSRC2:TGID_X_EN: 1
; COMPUTE_PGM_RSRC2:TGID_Y_EN: 0
; COMPUTE_PGM_RSRC2:TGID_Z_EN: 0
; COMPUTE_PGM_RSRC2:TIDIG_COMP_CNT: 1
; COMPUTE_PGM_RSRC3_GFX90A:ACCUM_OFFSET: 10
; COMPUTE_PGM_RSRC3_GFX90A:TG_SPLIT: 0
	.section	.text._ZN9rocsparseL13bsrilu0_33_64ILj64ELj64ELj64EdEEv20rocsparse_direction_iPKiS3_PT2_S3_iPiS3_S6_21rocsparse_index_base_imNS_24const_host_device_scalarIfEENS8_IdEENS8_IS4_EEb,"axG",@progbits,_ZN9rocsparseL13bsrilu0_33_64ILj64ELj64ELj64EdEEv20rocsparse_direction_iPKiS3_PT2_S3_iPiS3_S6_21rocsparse_index_base_imNS_24const_host_device_scalarIfEENS8_IdEENS8_IS4_EEb,comdat
	.globl	_ZN9rocsparseL13bsrilu0_33_64ILj64ELj64ELj64EdEEv20rocsparse_direction_iPKiS3_PT2_S3_iPiS3_S6_21rocsparse_index_base_imNS_24const_host_device_scalarIfEENS8_IdEENS8_IS4_EEb ; -- Begin function _ZN9rocsparseL13bsrilu0_33_64ILj64ELj64ELj64EdEEv20rocsparse_direction_iPKiS3_PT2_S3_iPiS3_S6_21rocsparse_index_base_imNS_24const_host_device_scalarIfEENS8_IdEENS8_IS4_EEb
	.p2align	8
	.type	_ZN9rocsparseL13bsrilu0_33_64ILj64ELj64ELj64EdEEv20rocsparse_direction_iPKiS3_PT2_S3_iPiS3_S6_21rocsparse_index_base_imNS_24const_host_device_scalarIfEENS8_IdEENS8_IS4_EEb,@function
_ZN9rocsparseL13bsrilu0_33_64ILj64ELj64ELj64EdEEv20rocsparse_direction_iPKiS3_PT2_S3_iPiS3_S6_21rocsparse_index_base_imNS_24const_host_device_scalarIfEENS8_IdEENS8_IS4_EEb: ; @_ZN9rocsparseL13bsrilu0_33_64ILj64ELj64ELj64EdEEv20rocsparse_direction_iPKiS3_PT2_S3_iPiS3_S6_21rocsparse_index_base_imNS_24const_host_device_scalarIfEENS8_IdEENS8_IS4_EEb
; %bb.0:
	s_load_dword s0, s[4:5], 0x70
	s_load_dwordx2 s[34:35], s[4:5], 0x48
	s_load_dwordx8 s[24:31], s[4:5], 0x50
	s_waitcnt lgkmcnt(0)
	s_bitcmp1_b32 s0, 0
	s_cselect_b64 s[0:1], -1, 0
	s_cmp_lg_u32 s35, 0
	s_cselect_b64 s[44:45], -1, 0
	s_cmp_eq_u32 s35, 0
	s_cselect_b64 s[2:3], -1, 0
	s_and_b64 s[8:9], s[2:3], exec
	s_cselect_b32 s10, 0, s28
	s_cselect_b32 s11, 0, s29
	s_or_b64 s[0:1], s[2:3], s[0:1]
	s_xor_b64 s[8:9], s[0:1], -1
	s_and_b64 vcc, exec, s[0:1]
	s_cbranch_vccnz .LBB12_2
; %bb.1:
	s_load_dword s0, s[26:27], 0x0
	s_mov_b64 s[10:11], s[28:29]
	s_waitcnt lgkmcnt(0)
	v_mov_b32_e32 v1, s0
	s_branch .LBB12_3
.LBB12_2:
	v_mov_b32_e32 v1, s26
	v_cndmask_b32_e64 v1, v1, 0, s[2:3]
.LBB12_3:
	v_cndmask_b32_e64 v2, 0, 1, s[8:9]
	v_cmp_ne_u32_e64 s[0:1], 1, v2
	s_andn2_b64 vcc, exec, s[8:9]
	v_pk_mov_b32 v[4:5], s[10:11], s[10:11] op_sel:[0,1]
	s_cbranch_vccnz .LBB12_5
; %bb.4:
	v_pk_mov_b32 v[2:3], s[28:29], s[28:29] op_sel:[0,1]
	flat_load_dwordx2 v[4:5], v[2:3]
.LBB12_5:
	s_and_b64 s[2:3], s[2:3], exec
	s_cselect_b32 s3, 0, s31
	s_cselect_b32 s2, 0, s30
	s_mov_b32 s7, 0
	s_and_b64 vcc, exec, s[0:1]
	v_pk_mov_b32 v[2:3], s[2:3], s[2:3] op_sel:[0,1]
	s_cbranch_vccnz .LBB12_7
; %bb.6:
	v_pk_mov_b32 v[2:3], s[30:31], s[30:31] op_sel:[0,1]
	flat_load_dwordx2 v[2:3], v[2:3]
.LBB12_7:
	s_load_dwordx4 s[28:31], s[4:5], 0x30
	s_load_dwordx2 s[26:27], s[4:5], 0x40
	s_lshl_b64 s[0:1], s[6:7], 2
	s_waitcnt lgkmcnt(0)
	s_add_u32 s0, s30, s0
	s_addc_u32 s1, s31, s1
	s_load_dword s30, s[0:1], 0x0
	s_load_dwordx8 s[16:23], s[4:5], 0x8
	s_waitcnt lgkmcnt(0)
	s_ashr_i32 s31, s30, 31
	s_lshl_b64 s[36:37], s[30:31], 2
	s_add_u32 s0, s22, s36
	s_addc_u32 s1, s23, s37
	s_load_dword s40, s[0:1], 0x0
	s_waitcnt lgkmcnt(0)
	s_cmp_eq_u32 s40, -1
	s_cbranch_scc1 .LBB12_100
; %bb.8:
	s_add_u32 s0, s16, s36
	s_addc_u32 s1, s17, s37
	s_load_dwordx2 s[2:3], s[0:1], 0x0
	s_load_dwordx2 s[42:43], s[4:5], 0x0
	s_load_dword s31, s[4:5], 0x28
	s_mov_b64 s[38:39], 0
	s_waitcnt lgkmcnt(0)
	s_sub_i32 s46, s2, s34
	s_sub_i32 s33, s3, s34
	s_cmp_ge_i32 s46, s40
	s_cbranch_scc1 .LBB12_89
; %bb.9:
	v_and_b32_e32 v22, 0x3ff, v0
	v_bfe_u32 v23, v0, 10, 10
	s_cmp_lg_u32 s42, 0
	s_cselect_b64 s[48:49], -1, 0
	s_cmp_gt_i32 s31, 0
	v_lshl_or_b32 v6, v23, 6, v22
	s_cselect_b64 s[10:11], -1, 0
	v_add_u32_e32 v6, s46, v6
	s_add_i32 s35, s43, 1
	s_movk_i32 s12, 0x208
	v_lshlrev_b32_e32 v10, 3, v22
	s_mul_i32 s13, s31, s46
	v_ashrrev_i32_e32 v7, 31, v6
	s_add_u32 s41, s16, 4
	v_mad_u32_u24 v25, v23, s12, v10
	v_add_u32_e32 v10, s13, v22
	v_lshlrev_b64 v[8:9], 2, v[6:7]
	s_addc_u32 s43, s17, 0
	v_mul_lo_u32 v26, s31, v10
	v_cndmask_b32_e64 v10, 0, 1, s[10:11]
	v_add_u32_e32 v24, 1, v23
	v_mov_b32_e32 v7, s19
	v_add_co_u32_e32 v8, vcc, s18, v8
	s_add_u32 s58, s18, 0x100
	v_cmp_ne_u32_e64 s[10:11], 1, v10
	v_mbcnt_lo_u32_b32 v10, -1, 0
	v_cmp_gt_i32_e64 s[0:1], s31, v22
	v_cmp_le_i32_e64 s[2:3], s31, v22
	v_cmp_gt_i32_e64 s[4:5], s31, v23
	v_cmp_eq_u32_e64 s[6:7], 0, v23
	v_cmp_gt_i32_e64 s[8:9], s33, v6
	v_addc_co_u32_e32 v9, vcc, v7, v9, vcc
	s_addc_u32 s59, s19, 0
	s_lshl_b32 s60, s31, 6
	v_mul_u32_u24_e32 v7, 0x208, v23
	v_add_u32_e32 v27, v24, v26
	s_mul_i32 s61, s31, s31
	v_mad_u32_u24 v28, v23, s12, s12
	v_mov_b32_e32 v29, 0
	v_cndmask_b32_e64 v30, 0, 1, s[48:49]
	v_mbcnt_hi_u32_b32 v31, -1, v10
	s_branch .LBB12_12
.LBB12_10:                              ;   in Loop: Header=BB12_12 Depth=1
	s_mov_b64 s[38:39], -1
.LBB12_11:                              ;   in Loop: Header=BB12_12 Depth=1
	s_add_i32 s46, s46, 1
	s_cmp_lt_i32 s46, s40
	s_cselect_b64 s[12:13], -1, 0
	s_and_b64 s[12:13], s[16:17], s[12:13]
	v_add_u32_e32 v27, s61, v27
	v_add_u32_e32 v26, s61, v26
	s_and_b64 vcc, exec, s[12:13]
	s_cbranch_vccz .LBB12_89
.LBB12_12:                              ; =>This Loop Header: Depth=1
                                        ;     Child Loop BB12_14 Depth 2
                                        ;     Child Loop BB12_18 Depth 2
                                        ;       Child Loop BB12_21 Depth 3
                                        ;     Child Loop BB12_28 Depth 2
                                        ;       Child Loop BB12_31 Depth 3
                                        ;         Child Loop BB12_42 Depth 4
                                        ;     Child Loop BB12_53 Depth 2
                                        ;       Child Loop BB12_58 Depth 3
                                        ;       Child Loop BB12_67 Depth 3
                                        ;         Child Loop BB12_70 Depth 4
                                        ;       Child Loop BB12_76 Depth 3
                                        ;         Child Loop BB12_79 Depth 4
                                        ;           Child Loop BB12_81 Depth 5
	s_ashr_i32 s47, s46, 31
	s_lshl_b64 s[12:13], s[46:47], 2
	s_add_u32 s12, s18, s12
	s_addc_u32 s13, s19, s13
	global_load_dword v10, v29, s[12:13]
	s_waitcnt vmcnt(0)
	v_readfirstlane_b32 s12, v10
	s_sub_i32 s12, s12, s34
	s_ashr_i32 s13, s12, 31
	s_lshl_b64 s[12:13], s[12:13], 2
	s_add_u32 s14, s22, s12
	s_addc_u32 s15, s23, s13
	global_load_dword v10, v29, s[14:15]
	s_waitcnt vmcnt(0)
	v_readfirstlane_b32 s63, v10
	v_cmp_eq_u32_e32 vcc, -1, v10
	s_cmp_lg_u32 s63, -1
	s_cselect_b64 s[16:17], -1, 0
	s_cbranch_vccnz .LBB12_10
; %bb.13:                               ;   in Loop: Header=BB12_12 Depth=1
	s_add_u32 s14, s41, s12
	s_addc_u32 s15, s43, s13
	global_load_dword v10, v29, s[14:15]
	s_add_u32 s12, s28, s12
	s_addc_u32 s13, s29, s13
	s_waitcnt vmcnt(0)
	v_readfirstlane_b32 s62, v10
.LBB12_14:                              ;   Parent Loop BB12_12 Depth=1
                                        ; =>  This Inner Loop Header: Depth=2
	global_load_dword v10, v29, s[12:13] glc
	s_waitcnt vmcnt(0)
	v_cmp_eq_u32_e32 vcc, 0, v10
	s_cbranch_vccnz .LBB12_14
; %bb.15:                               ;   in Loop: Header=BB12_12 Depth=1
	buffer_wbinvl1_vol
	s_and_saveexec_b64 s[12:13], s[0:1]
	s_cbranch_execz .LBB12_25
; %bb.16:                               ;   in Loop: Header=BB12_12 Depth=1
	s_mul_i32 s47, s63, s31
	v_add_u32_e32 v10, s47, v22
	s_waitcnt lgkmcnt(0)
	v_mul_lo_u32 v11, s31, v10
	s_mov_b64 s[14:15], 0
	v_mov_b32_e32 v14, v25
	v_mov_b32_e32 v10, v22
	s_branch .LBB12_18
.LBB12_17:                              ;   in Loop: Header=BB12_18 Depth=2
	s_or_b64 exec, exec, s[50:51]
	v_add_u32_e32 v10, 64, v10
	v_cmp_le_i32_e32 vcc, s31, v10
	v_add_u32_e32 v11, s60, v11
	s_or_b64 s[14:15], vcc, s[14:15]
	v_add_u32_e32 v14, 0x200, v14
	s_andn2_b64 exec, exec, s[14:15]
	s_cbranch_execz .LBB12_25
.LBB12_18:                              ;   Parent Loop BB12_12 Depth=1
                                        ; =>  This Loop Header: Depth=2
                                        ;       Child Loop BB12_21 Depth 3
	s_and_saveexec_b64 s[50:51], s[4:5]
	s_cbranch_execz .LBB12_17
; %bb.19:                               ;   in Loop: Header=BB12_18 Depth=2
	s_mov_b64 s[52:53], 0
	v_mov_b32_e32 v15, v14
	v_mov_b32_e32 v16, v23
	s_branch .LBB12_21
.LBB12_20:                              ;   in Loop: Header=BB12_21 Depth=3
	v_ashrrev_i32_e32 v13, 31, v12
	v_lshlrev_b64 v[12:13], 3, v[12:13]
	v_mov_b32_e32 v17, s21
	v_add_co_u32_e32 v12, vcc, s20, v12
	v_addc_co_u32_e32 v13, vcc, v17, v13, vcc
	global_load_dwordx2 v[12:13], v[12:13], off
	v_add_u32_e32 v16, 1, v16
	v_cmp_le_i32_e32 vcc, s31, v16
	s_or_b64 s[52:53], vcc, s[52:53]
	s_waitcnt vmcnt(0)
	ds_write_b64 v15, v[12:13]
	v_add_u32_e32 v15, 0x208, v15
	s_andn2_b64 exec, exec, s[52:53]
	s_cbranch_execz .LBB12_17
.LBB12_21:                              ;   Parent Loop BB12_12 Depth=1
                                        ;     Parent Loop BB12_18 Depth=2
                                        ; =>    This Inner Loop Header: Depth=3
	s_and_b64 vcc, exec, s[48:49]
	s_cbranch_vccz .LBB12_23
; %bb.22:                               ;   in Loop: Header=BB12_21 Depth=3
	v_add_u32_e32 v12, s47, v16
	v_mad_u64_u32 v[12:13], s[54:55], v12, s31, v[10:11]
	s_cbranch_execnz .LBB12_20
	s_branch .LBB12_24
.LBB12_23:                              ;   in Loop: Header=BB12_21 Depth=3
                                        ; implicit-def: $vgpr12
.LBB12_24:                              ;   in Loop: Header=BB12_21 Depth=3
	v_add_u32_e32 v12, v11, v16
	s_branch .LBB12_20
.LBB12_25:                              ;   in Loop: Header=BB12_12 Depth=1
	s_or_b64 exec, exec, s[12:13]
	s_and_b64 vcc, exec, s[10:11]
	s_mul_i32 s47, s46, s31
	s_waitcnt lgkmcnt(0)
	s_cbranch_vccnz .LBB12_48
; %bb.26:                               ;   in Loop: Header=BB12_12 Depth=1
	s_mov_b32 s64, 0
	v_mov_b32_e32 v13, v28
	v_mov_b32_e32 v32, v27
	s_branch .LBB12_28
.LBB12_27:                              ;   in Loop: Header=BB12_28 Depth=2
	s_or_b64 exec, exec, s[50:51]
	s_add_i32 s64, s64, 1
	v_add_u32_e32 v32, 1, v32
	s_cmp_eq_u32 s64, s31
	v_add_u32_e32 v13, 0x210, v13
	s_cbranch_scc1 .LBB12_48
.LBB12_28:                              ;   Parent Loop BB12_12 Depth=1
                                        ; =>  This Loop Header: Depth=2
                                        ;       Child Loop BB12_31 Depth 3
                                        ;         Child Loop BB12_42 Depth 4
	s_and_saveexec_b64 s[50:51], s[0:1]
	s_cbranch_execz .LBB12_27
; %bb.29:                               ;   in Loop: Header=BB12_28 Depth=2
	s_lshl_b32 s12, s64, 3
	s_mul_i32 s13, s64, 0x208
	s_add_i32 s12, s13, s12
	v_mov_b32_e32 v10, s12
	ds_read_b64 v[10:11], v10
	s_add_i32 s65, s64, s47
	v_add_u32_e32 v33, s64, v24
	s_mul_i32 s65, s65, s31
	v_cmp_gt_i32_e64 s[12:13], s31, v33
	s_mov_b64 s[52:53], 0
	v_mov_b32_e32 v34, v32
	v_mov_b32_e32 v12, v22
	s_branch .LBB12_31
.LBB12_30:                              ;   in Loop: Header=BB12_31 Depth=3
	s_or_b64 exec, exec, s[54:55]
	v_add_u32_e32 v12, 64, v12
	v_cmp_le_i32_e32 vcc, s31, v12
	s_or_b64 s[52:53], vcc, s[52:53]
	v_add_u32_e32 v34, s60, v34
	s_andn2_b64 exec, exec, s[52:53]
	s_cbranch_execz .LBB12_27
.LBB12_31:                              ;   Parent Loop BB12_12 Depth=1
                                        ;     Parent Loop BB12_28 Depth=2
                                        ; =>    This Loop Header: Depth=3
                                        ;         Child Loop BB12_42 Depth 4
	s_and_b64 vcc, exec, s[48:49]
	s_cbranch_vccz .LBB12_46
; %bb.32:                               ;   in Loop: Header=BB12_31 Depth=3
	v_add_u32_e32 v14, s65, v12
	s_cbranch_execnz .LBB12_34
.LBB12_33:                              ;   in Loop: Header=BB12_31 Depth=3
	v_add_u32_e32 v14, s47, v12
	v_mul_lo_u32 v14, v14, s31
	v_add_u32_e32 v14, s64, v14
.LBB12_34:                              ;   in Loop: Header=BB12_31 Depth=3
	v_ashrrev_i32_e32 v15, 31, v14
	v_lshlrev_b64 v[14:15], 3, v[14:15]
	v_mov_b32_e32 v16, s21
	v_add_co_u32_e32 v14, vcc, s20, v14
	v_addc_co_u32_e32 v15, vcc, v16, v15, vcc
	global_load_dwordx2 v[14:15], v[14:15], off
	s_waitcnt vmcnt(0) lgkmcnt(0)
	v_div_scale_f64 v[16:17], s[14:15], v[10:11], v[10:11], v[14:15]
	v_rcp_f64_e32 v[18:19], v[16:17]
	v_div_scale_f64 v[20:21], vcc, v[14:15], v[10:11], v[14:15]
	v_fma_f64 v[36:37], -v[16:17], v[18:19], 1.0
	v_fmac_f64_e32 v[18:19], v[18:19], v[36:37]
	v_fma_f64 v[36:37], -v[16:17], v[18:19], 1.0
	v_fmac_f64_e32 v[18:19], v[18:19], v[36:37]
	v_mul_f64 v[36:37], v[20:21], v[18:19]
	v_fma_f64 v[16:17], -v[16:17], v[36:37], v[20:21]
	v_div_fmas_f64 v[16:17], v[16:17], v[18:19], v[36:37]
	v_div_fixup_f64 v[14:15], v[16:17], v[10:11], v[14:15]
	s_and_saveexec_b64 s[14:15], s[6:7]
	s_cbranch_execz .LBB12_39
; %bb.35:                               ;   in Loop: Header=BB12_31 Depth=3
	s_and_b64 vcc, exec, s[48:49]
	s_cbranch_vccz .LBB12_47
; %bb.36:                               ;   in Loop: Header=BB12_31 Depth=3
	v_add_u32_e32 v16, s65, v12
	s_cbranch_execnz .LBB12_38
.LBB12_37:                              ;   in Loop: Header=BB12_31 Depth=3
	v_add_u32_e32 v16, s47, v12
	v_mul_lo_u32 v16, v16, s31
	v_add_u32_e32 v16, s64, v16
.LBB12_38:                              ;   in Loop: Header=BB12_31 Depth=3
	v_ashrrev_i32_e32 v17, 31, v16
	v_lshlrev_b64 v[16:17], 3, v[16:17]
	v_mov_b32_e32 v18, s21
	v_add_co_u32_e32 v16, vcc, s20, v16
	v_addc_co_u32_e32 v17, vcc, v18, v17, vcc
	global_store_dwordx2 v[16:17], v[14:15], off
.LBB12_39:                              ;   in Loop: Header=BB12_31 Depth=3
	s_or_b64 exec, exec, s[14:15]
	s_and_saveexec_b64 s[54:55], s[12:13]
	s_cbranch_execz .LBB12_30
; %bb.40:                               ;   in Loop: Header=BB12_31 Depth=3
	s_mov_b64 s[56:57], 0
	v_mov_b32_e32 v35, v13
	v_mov_b32_e32 v36, v34
	;; [unrolled: 1-line block ×3, first 2 shown]
	s_branch .LBB12_42
.LBB12_41:                              ;   in Loop: Header=BB12_42 Depth=4
	v_ashrrev_i32_e32 v19, 31, v18
	v_lshlrev_b64 v[18:19], 3, v[18:19]
	s_waitcnt vmcnt(0) lgkmcnt(0)
	v_fma_f64 v[16:17], -v[14:15], v[16:17], v[20:21]
	v_mov_b32_e32 v20, s21
	v_add_co_u32_e32 v18, vcc, s20, v18
	v_addc_co_u32_e32 v19, vcc, v20, v19, vcc
	v_add_u32_e32 v37, 1, v37
	v_cmp_le_i32_e32 vcc, s31, v37
	v_add_u32_e32 v36, 1, v36
	s_or_b64 s[56:57], vcc, s[56:57]
	v_add_u32_e32 v35, 0x208, v35
	global_store_dwordx2 v[18:19], v[16:17], off
	s_andn2_b64 exec, exec, s[56:57]
	s_cbranch_execz .LBB12_30
.LBB12_42:                              ;   Parent Loop BB12_12 Depth=1
                                        ;     Parent Loop BB12_28 Depth=2
                                        ;       Parent Loop BB12_31 Depth=3
                                        ; =>      This Inner Loop Header: Depth=4
	ds_read_b64 v[16:17], v35
	v_cmp_ne_u32_e64 s[14:15], 1, v30
	s_andn2_b64 vcc, exec, s[48:49]
	v_add_u32_e32 v38, s47, v37
	v_mov_b32_e32 v18, v36
	s_cbranch_vccnz .LBB12_44
; %bb.43:                               ;   in Loop: Header=BB12_42 Depth=4
	v_mad_u64_u32 v[18:19], s[66:67], v38, s31, v[12:13]
.LBB12_44:                              ;   in Loop: Header=BB12_42 Depth=4
	v_ashrrev_i32_e32 v19, 31, v18
	v_lshlrev_b64 v[18:19], 3, v[18:19]
	v_mov_b32_e32 v20, s21
	v_add_co_u32_e32 v18, vcc, s20, v18
	v_addc_co_u32_e32 v19, vcc, v20, v19, vcc
	global_load_dwordx2 v[20:21], v[18:19], off
	s_and_b64 vcc, exec, s[14:15]
	v_mov_b32_e32 v18, v36
	s_cbranch_vccnz .LBB12_41
; %bb.45:                               ;   in Loop: Header=BB12_42 Depth=4
	v_mad_u64_u32 v[18:19], s[14:15], v38, s31, v[12:13]
	s_branch .LBB12_41
.LBB12_46:                              ;   in Loop: Header=BB12_31 Depth=3
                                        ; implicit-def: $vgpr14
	s_branch .LBB12_33
.LBB12_47:                              ;   in Loop: Header=BB12_31 Depth=3
                                        ; implicit-def: $vgpr16
	s_branch .LBB12_37
.LBB12_48:                              ;   in Loop: Header=BB12_12 Depth=1
	s_sub_i32 s62, s62, s34
	s_add_i32 s12, s63, 1
	s_cmp_ge_i32 s12, s62
	s_cbranch_scc1 .LBB12_11
; %bb.49:                               ;   in Loop: Header=BB12_12 Depth=1
	s_mul_i32 s13, s31, s12
	v_add_u32_e32 v10, s13, v22
	v_mul_lo_u32 v16, s31, v10
	s_branch .LBB12_53
.LBB12_50:                              ;   in Loop: Header=BB12_53 Depth=2
	s_or_b64 exec, exec, s[50:51]
.LBB12_51:                              ;   in Loop: Header=BB12_53 Depth=2
	s_or_b64 exec, exec, s[14:15]
.LBB12_52:                              ;   in Loop: Header=BB12_53 Depth=2
	s_add_i32 s12, s12, 1
	s_cmp_lt_i32 s12, s62
	v_add_u32_e32 v16, s61, v16
	s_cbranch_scc0 .LBB12_11
.LBB12_53:                              ;   Parent Loop BB12_12 Depth=1
                                        ; =>  This Loop Header: Depth=2
                                        ;       Child Loop BB12_58 Depth 3
                                        ;       Child Loop BB12_67 Depth 3
                                        ;         Child Loop BB12_70 Depth 4
                                        ;       Child Loop BB12_76 Depth 3
                                        ;         Child Loop BB12_79 Depth 4
                                        ;           Child Loop BB12_81 Depth 5
	s_ashr_i32 s13, s12, 31
	s_lshl_b64 s[14:15], s[12:13], 2
	s_add_u32 s14, s18, s14
	s_addc_u32 s15, s19, s15
	global_load_dword v10, v29, s[14:15]
	s_waitcnt lgkmcnt(0)
	v_mov_b32_e32 v11, s35
	s_and_saveexec_b64 s[14:15], s[8:9]
	s_cbranch_execz .LBB12_55
; %bb.54:                               ;   in Loop: Header=BB12_53 Depth=2
	global_load_dword v11, v[8:9], off
	s_waitcnt vmcnt(0)
	v_subrev_u32_e32 v11, s34, v11
.LBB12_55:                              ;   in Loop: Header=BB12_53 Depth=2
	s_or_b64 exec, exec, s[14:15]
	s_waitcnt vmcnt(0)
	v_subrev_u32_e32 v12, s34, v10
	v_cmp_lt_i32_e32 vcc, v11, v12
	v_mov_b32_e32 v13, v6
	s_and_saveexec_b64 s[14:15], vcc
	s_cbranch_execz .LBB12_61
; %bb.56:                               ;   in Loop: Header=BB12_53 Depth=2
	s_mov_b64 s[50:51], 0
	v_mov_b32_e32 v10, v6
	s_branch .LBB12_58
.LBB12_57:                              ;   in Loop: Header=BB12_58 Depth=3
	s_or_b64 exec, exec, s[52:53]
	v_cmp_ge_i32_e32 vcc, v11, v12
	s_or_b64 s[50:51], vcc, s[50:51]
	v_mov_b32_e32 v10, v13
	s_andn2_b64 exec, exec, s[50:51]
	s_cbranch_execz .LBB12_60
.LBB12_58:                              ;   Parent Loop BB12_12 Depth=1
                                        ;     Parent Loop BB12_53 Depth=2
                                        ; =>    This Inner Loop Header: Depth=3
	v_add_u32_e32 v13, 64, v10
	v_cmp_gt_i32_e32 vcc, s33, v13
	v_mov_b32_e32 v11, s35
	s_and_saveexec_b64 s[52:53], vcc
	s_cbranch_execz .LBB12_57
; %bb.59:                               ;   in Loop: Header=BB12_58 Depth=3
	v_ashrrev_i32_e32 v11, 31, v10
	v_lshlrev_b64 v[10:11], 2, v[10:11]
	v_mov_b32_e32 v14, s59
	v_add_co_u32_e32 v10, vcc, s58, v10
	v_addc_co_u32_e32 v11, vcc, v14, v11, vcc
	global_load_dword v10, v[10:11], off
	s_waitcnt vmcnt(0)
	v_subrev_u32_e32 v11, s34, v10
	s_branch .LBB12_57
.LBB12_60:                              ;   in Loop: Header=BB12_53 Depth=2
	s_or_b64 exec, exec, s[50:51]
.LBB12_61:                              ;   in Loop: Header=BB12_53 Depth=2
	s_or_b64 exec, exec, s[14:15]
	v_cmp_eq_u32_e32 vcc, v11, v12
	s_cbranch_vccz .LBB12_52
; %bb.62:                               ;   in Loop: Header=BB12_53 Depth=2
	s_ff1_i32_b64 s13, vcc
	v_and_or_b32 v10, v31, 64, s13
	v_lshlrev_b32_e32 v10, 2, v10
	ds_bpermute_b32 v11, v10, v13
	s_and_saveexec_b64 s[14:15], s[2:3]
	s_xor_b64 s[14:15], exec, s[14:15]
	s_cbranch_execz .LBB12_64
; %bb.63:                               ;   in Loop: Header=BB12_53 Depth=2
	s_waitcnt lgkmcnt(0)
                                        ; implicit-def: $vgpr11
.LBB12_64:                              ;   in Loop: Header=BB12_53 Depth=2
	s_andn2_saveexec_b64 s[14:15], s[14:15]
	s_cbranch_execz .LBB12_51
; %bb.65:                               ;   in Loop: Header=BB12_53 Depth=2
	s_mul_i32 s13, s12, s31
	s_mov_b64 s[50:51], 0
	v_mov_b32_e32 v14, v25
	v_mov_b32_e32 v15, v16
	;; [unrolled: 1-line block ×3, first 2 shown]
	s_branch .LBB12_67
.LBB12_66:                              ;   in Loop: Header=BB12_67 Depth=3
	s_or_b64 exec, exec, s[52:53]
	v_add_u32_e32 v10, 64, v10
	v_cmp_le_i32_e32 vcc, s31, v10
	v_add_u32_e32 v15, s60, v15
	s_or_b64 s[50:51], vcc, s[50:51]
	v_add_u32_e32 v14, 0x200, v14
	s_andn2_b64 exec, exec, s[50:51]
	s_cbranch_execz .LBB12_74
.LBB12_67:                              ;   Parent Loop BB12_12 Depth=1
                                        ;     Parent Loop BB12_53 Depth=2
                                        ; =>    This Loop Header: Depth=3
                                        ;         Child Loop BB12_70 Depth 4
	s_and_saveexec_b64 s[52:53], s[4:5]
	s_cbranch_execz .LBB12_66
; %bb.68:                               ;   in Loop: Header=BB12_67 Depth=3
	s_mov_b64 s[54:55], 0
	v_mov_b32_e32 v17, v14
	v_mov_b32_e32 v18, v23
	s_branch .LBB12_70
.LBB12_69:                              ;   in Loop: Header=BB12_70 Depth=4
	v_ashrrev_i32_e32 v13, 31, v12
	v_lshlrev_b64 v[12:13], 3, v[12:13]
	v_mov_b32_e32 v19, s21
	v_add_co_u32_e32 v12, vcc, s20, v12
	v_addc_co_u32_e32 v13, vcc, v19, v13, vcc
	global_load_dwordx2 v[12:13], v[12:13], off
	v_add_u32_e32 v18, 1, v18
	v_cmp_le_i32_e32 vcc, s31, v18
	s_or_b64 s[54:55], vcc, s[54:55]
	s_waitcnt vmcnt(0)
	ds_write_b64 v17, v[12:13]
	v_add_u32_e32 v17, 0x208, v17
	s_andn2_b64 exec, exec, s[54:55]
	s_cbranch_execz .LBB12_66
.LBB12_70:                              ;   Parent Loop BB12_12 Depth=1
                                        ;     Parent Loop BB12_53 Depth=2
                                        ;       Parent Loop BB12_67 Depth=3
                                        ; =>      This Inner Loop Header: Depth=4
	s_and_b64 vcc, exec, s[48:49]
	s_cbranch_vccz .LBB12_72
; %bb.71:                               ;   in Loop: Header=BB12_70 Depth=4
	v_add_u32_e32 v12, s13, v18
	s_waitcnt lgkmcnt(0)
	v_mad_u64_u32 v[12:13], s[56:57], v12, s31, v[10:11]
	s_cbranch_execnz .LBB12_69
	s_branch .LBB12_73
.LBB12_72:                              ;   in Loop: Header=BB12_70 Depth=4
                                        ; implicit-def: $vgpr12
.LBB12_73:                              ;   in Loop: Header=BB12_70 Depth=4
	v_add_u32_e32 v12, v15, v18
	s_branch .LBB12_69
.LBB12_74:                              ;   in Loop: Header=BB12_53 Depth=2
	s_or_b64 exec, exec, s[50:51]
	s_waitcnt lgkmcnt(0)
	v_mul_lo_u32 v11, v11, s31
	s_mov_b64 s[50:51], 0
	v_mov_b32_e32 v17, v26
	v_mov_b32_e32 v10, v22
	s_branch .LBB12_76
.LBB12_75:                              ;   in Loop: Header=BB12_76 Depth=3
	s_or_b64 exec, exec, s[52:53]
	v_add_u32_e32 v10, 64, v10
	v_cmp_le_i32_e32 vcc, s31, v10
	s_or_b64 s[50:51], vcc, s[50:51]
	v_add_u32_e32 v17, s60, v17
	s_andn2_b64 exec, exec, s[50:51]
	s_cbranch_execz .LBB12_50
.LBB12_76:                              ;   Parent Loop BB12_12 Depth=1
                                        ;     Parent Loop BB12_53 Depth=2
                                        ; =>    This Loop Header: Depth=3
                                        ;         Child Loop BB12_79 Depth 4
                                        ;           Child Loop BB12_81 Depth 5
	s_and_saveexec_b64 s[52:53], s[4:5]
	s_cbranch_execz .LBB12_75
; %bb.77:                               ;   in Loop: Header=BB12_76 Depth=3
	v_add_u32_e32 v12, v10, v11
	v_mul_lo_u32 v18, v12, s31
	s_mov_b64 s[54:55], 0
	v_mov_b32_e32 v19, v7
	v_mov_b32_e32 v20, v23
	s_branch .LBB12_79
.LBB12_78:                              ;   in Loop: Header=BB12_79 Depth=4
	v_ashrrev_i32_e32 v15, 31, v14
	v_lshlrev_b64 v[14:15], 3, v[14:15]
	v_mov_b32_e32 v21, s21
	v_add_co_u32_e32 v14, vcc, s20, v14
	v_addc_co_u32_e32 v15, vcc, v21, v15, vcc
	global_load_dwordx2 v[32:33], v[14:15], off
	v_add_u32_e32 v20, 1, v20
	v_cmp_le_i32_e32 vcc, s31, v20
	s_or_b64 s[54:55], vcc, s[54:55]
	v_add_u32_e32 v19, 0x208, v19
	s_waitcnt vmcnt(0)
	v_add_f64 v[12:13], v[32:33], -v[12:13]
	global_store_dwordx2 v[14:15], v[12:13], off
	s_andn2_b64 exec, exec, s[54:55]
	s_cbranch_execz .LBB12_75
.LBB12_79:                              ;   Parent Loop BB12_12 Depth=1
                                        ;     Parent Loop BB12_53 Depth=2
                                        ;       Parent Loop BB12_76 Depth=3
                                        ; =>      This Loop Header: Depth=4
                                        ;           Child Loop BB12_81 Depth 5
	s_mov_b32 s13, 0
	v_pk_mov_b32 v[12:13], 0, 0
	v_mov_b32_e32 v21, v19
	s_branch .LBB12_81
.LBB12_80:                              ;   in Loop: Header=BB12_81 Depth=5
	v_ashrrev_i32_e32 v15, 31, v14
	v_lshlrev_b64 v[14:15], 3, v[14:15]
	v_mov_b32_e32 v32, s21
	v_add_co_u32_e32 v14, vcc, s20, v14
	v_addc_co_u32_e32 v15, vcc, v32, v15, vcc
	global_load_dwordx2 v[14:15], v[14:15], off
	ds_read_b64 v[32:33], v21
	s_add_i32 s13, s13, 1
	s_cmp_eq_u32 s31, s13
	v_add_u32_e32 v21, 8, v21
	s_waitcnt vmcnt(0) lgkmcnt(0)
	v_fmac_f64_e32 v[12:13], v[14:15], v[32:33]
	s_cbranch_scc1 .LBB12_85
.LBB12_81:                              ;   Parent Loop BB12_12 Depth=1
                                        ;     Parent Loop BB12_53 Depth=2
                                        ;       Parent Loop BB12_76 Depth=3
                                        ;         Parent Loop BB12_79 Depth=4
                                        ; =>        This Inner Loop Header: Depth=5
	s_and_b64 vcc, exec, s[48:49]
	s_cbranch_vccz .LBB12_83
; %bb.82:                               ;   in Loop: Header=BB12_81 Depth=5
	s_add_i32 s56, s13, s47
	s_mul_i32 s56, s56, s31
	v_add_u32_e32 v14, s56, v10
	s_cbranch_execnz .LBB12_80
	s_branch .LBB12_84
.LBB12_83:                              ;   in Loop: Header=BB12_81 Depth=5
                                        ; implicit-def: $vgpr14
.LBB12_84:                              ;   in Loop: Header=BB12_81 Depth=5
	v_add_u32_e32 v14, s13, v17
	s_branch .LBB12_80
.LBB12_85:                              ;   in Loop: Header=BB12_79 Depth=4
	s_and_b64 vcc, exec, s[48:49]
	s_cbranch_vccz .LBB12_87
; %bb.86:                               ;   in Loop: Header=BB12_79 Depth=4
	v_add_u32_e32 v14, v20, v11
	v_mad_u64_u32 v[14:15], s[56:57], v14, s31, v[10:11]
	s_cbranch_execnz .LBB12_78
	s_branch .LBB12_88
.LBB12_87:                              ;   in Loop: Header=BB12_79 Depth=4
                                        ; implicit-def: $vgpr14
.LBB12_88:                              ;   in Loop: Header=BB12_79 Depth=4
	v_add_u32_e32 v14, v20, v18
	s_branch .LBB12_78
.LBB12_89:
	s_ashr_i32 s41, s40, 31
	s_lshl_b64 s[0:1], s[40:41], 2
	s_add_u32 s0, s18, s0
	s_addc_u32 s1, s19, s1
	v_mov_b32_e32 v6, 0
	s_waitcnt lgkmcnt(0)
	global_load_dword v6, v6, s[0:1]
	s_waitcnt vmcnt(0)
	v_subrev_u32_e32 v6, s34, v6
	v_cmp_ne_u32_e32 vcc, s30, v6
	s_cbranch_vccnz .LBB12_134
; %bb.90:
	v_and_b32_e32 v6, 0x3ff, v0
	v_cmp_gt_i32_e64 s[0:1], s31, v6
	v_lshlrev_b32_e32 v7, 3, v6
	s_and_saveexec_b64 s[4:5], s[0:1]
	s_cbranch_execz .LBB12_101
; %bb.91:
	s_mul_i32 s16, s40, s31
	v_add_u32_e32 v8, s16, v6
	v_bfe_u32 v9, v0, 10, 10
	s_cmp_lg_u32 s42, 0
	v_mul_lo_u32 v12, s31, v8
	v_lshlrev_b32_e32 v8, 3, v6
	s_movk_i32 s8, 0x208
	v_cmp_gt_u32_e64 s[2:3], s31, v9
	s_cselect_b64 s[6:7], -1, 0
	s_lshl_b32 s17, s31, 6
	v_mad_u32_u24 v13, v9, s8, v8
	s_mov_b64 s[8:9], 0
	v_mov_b32_e32 v8, v6
	s_branch .LBB12_93
.LBB12_92:                              ;   in Loop: Header=BB12_93 Depth=1
	s_or_b64 exec, exec, s[10:11]
	v_add_u32_e32 v8, 64, v8
	v_cmp_le_i32_e32 vcc, s31, v8
	v_add_u32_e32 v12, s17, v12
	s_or_b64 s[8:9], vcc, s[8:9]
	v_add_u32_e32 v13, 0x200, v13
	s_andn2_b64 exec, exec, s[8:9]
	s_cbranch_execz .LBB12_101
.LBB12_93:                              ; =>This Loop Header: Depth=1
                                        ;     Child Loop BB12_96 Depth 2
	s_and_saveexec_b64 s[10:11], s[2:3]
	s_cbranch_execz .LBB12_92
; %bb.94:                               ;   in Loop: Header=BB12_93 Depth=1
	s_mov_b64 s[12:13], 0
	v_mov_b32_e32 v14, v13
	v_mov_b32_e32 v15, v9
	s_branch .LBB12_96
.LBB12_95:                              ;   in Loop: Header=BB12_96 Depth=2
	v_ashrrev_i32_e32 v11, 31, v10
	v_lshlrev_b64 v[10:11], 3, v[10:11]
	v_mov_b32_e32 v16, s21
	v_add_co_u32_e32 v10, vcc, s20, v10
	v_addc_co_u32_e32 v11, vcc, v16, v11, vcc
	global_load_dwordx2 v[10:11], v[10:11], off
	v_add_u32_e32 v15, 1, v15
	v_cmp_le_i32_e32 vcc, s31, v15
	s_or_b64 s[12:13], vcc, s[12:13]
	s_waitcnt vmcnt(0)
	ds_write_b64 v14, v[10:11]
	v_add_u32_e32 v14, 0x208, v14
	s_andn2_b64 exec, exec, s[12:13]
	s_cbranch_execz .LBB12_92
.LBB12_96:                              ;   Parent Loop BB12_93 Depth=1
                                        ; =>  This Inner Loop Header: Depth=2
	s_and_b64 vcc, exec, s[6:7]
	s_cbranch_vccz .LBB12_98
; %bb.97:                               ;   in Loop: Header=BB12_96 Depth=2
	v_add_u32_e32 v10, s16, v15
	v_mad_u64_u32 v[10:11], s[14:15], v10, s31, v[8:9]
	s_cbranch_execnz .LBB12_95
	s_branch .LBB12_99
.LBB12_98:                              ;   in Loop: Header=BB12_96 Depth=2
                                        ; implicit-def: $vgpr10
.LBB12_99:                              ;   in Loop: Header=BB12_96 Depth=2
	v_add_u32_e32 v10, v12, v15
	s_branch .LBB12_95
.LBB12_100:
	s_mov_b64 s[38:39], -1
	s_branch .LBB12_169
.LBB12_101:
	s_or_b64 exec, exec, s[4:5]
	s_cmp_lt_i32 s31, 1
	s_waitcnt lgkmcnt(0)
	s_cbranch_scc1 .LBB12_123
; %bb.102:
	s_cmp_eq_u64 s[24:25], 8
	v_cvt_f64_f32_e32 v[8:9], v1
	s_cselect_b64 vcc, -1, 0
	v_bfe_u32 v1, v0, 10, 10
	v_cndmask_b32_e32 v4, v8, v4, vcc
	v_or_b32_e32 v8, v6, v1
	v_cmp_eq_u32_e64 s[2:3], 0, v8
	s_movk_i32 s6, 0x208
	v_cndmask_b32_e64 v8, 0, 1, s[44:45]
	v_cndmask_b32_e32 v5, v9, v5, vcc
	s_mov_b32 s18, 0
	v_cmp_eq_u32_e64 s[4:5], 0, v1
	v_mad_u32_u24 v12, v1, s6, s6
	v_cmp_ne_u32_e64 s[6:7], 1, v8
.LBB12_103:                             ; =>This Loop Header: Depth=1
                                        ;     Child Loop BB12_115 Depth 2
                                        ;       Child Loop BB12_119 Depth 3
	s_lshl_b32 s8, s18, 3
	s_mul_i32 s19, s18, 0x208
	s_add_i32 s10, s19, s8
	v_mov_b32_e32 v8, s10
	s_waitcnt lgkmcnt(0)
	ds_read_b64 v[10:11], v8
	s_and_b64 vcc, exec, s[6:7]
	s_cbranch_vccnz .LBB12_107
; %bb.104:                              ;   in Loop: Header=BB12_103 Depth=1
	s_waitcnt lgkmcnt(0)
	v_xor_b32_e32 v8, 0x80000000, v11
	v_cmp_gt_f64_e32 vcc, 0, v[10:11]
	v_cndmask_b32_e32 v9, v11, v8, vcc
	v_cndmask_b32_e32 v8, v10, v10, vcc
	v_cmp_le_f64_e32 vcc, v[8:9], v[4:5]
	v_cndmask_b32_e32 v9, v11, v3, vcc
	v_cndmask_b32_e32 v8, v10, v2, vcc
	s_and_saveexec_b64 s[8:9], s[2:3]
	s_cbranch_execz .LBB12_106
; %bb.105:                              ;   in Loop: Header=BB12_103 Depth=1
	v_mov_b32_e32 v13, s10
	ds_write_b64 v13, v[8:9]
.LBB12_106:                             ;   in Loop: Header=BB12_103 Depth=1
	s_or_b64 exec, exec, s[8:9]
	s_mov_b64 s[10:11], -1
	s_mov_b64 s[8:9], 0
	s_cbranch_execz .LBB12_108
	s_branch .LBB12_109
.LBB12_107:                             ;   in Loop: Header=BB12_103 Depth=1
	s_mov_b64 s[10:11], 0
                                        ; implicit-def: $vgpr8_vgpr9
	s_mov_b64 s[8:9], 0
.LBB12_108:                             ;   in Loop: Header=BB12_103 Depth=1
	s_waitcnt lgkmcnt(0)
	v_cmp_neq_f64_e64 s[10:11], 0, v[10:11]
	s_mov_b64 s[8:9], -1
	v_pk_mov_b32 v[8:9], v[10:11], v[10:11] op_sel:[0,1]
.LBB12_109:                             ;   in Loop: Header=BB12_103 Depth=1
	s_andn2_b64 vcc, exec, s[10:11]
                                        ; implicit-def: $sgpr22
	s_cbranch_vccz .LBB12_112
; %bb.110:                              ;   in Loop: Header=BB12_103 Depth=1
	s_andn2_b64 vcc, exec, s[8:9]
	s_cbranch_vccz .LBB12_121
.LBB12_111:                             ;   in Loop: Header=BB12_103 Depth=1
	s_cmp_eq_u32 s22, s31
	s_cbranch_scc0 .LBB12_122
	s_branch .LBB12_123
.LBB12_112:                             ;   in Loop: Header=BB12_103 Depth=1
	s_add_i32 s22, s18, 1
	v_add_u32_e32 v13, s22, v6
	v_cmp_gt_i32_e32 vcc, s31, v13
	s_and_saveexec_b64 s[10:11], vcc
	s_cbranch_execz .LBB12_120
; %bb.113:                              ;   in Loop: Header=BB12_103 Depth=1
	v_add_u32_e32 v14, s22, v1
	s_mul_i32 s12, s18, 0x210
	v_cmp_gt_i32_e64 s[8:9], s31, v14
	v_add_u32_e32 v15, s12, v12
	s_mov_b64 s[12:13], 0
	v_mov_b32_e32 v16, v7
	s_branch .LBB12_115
.LBB12_114:                             ;   in Loop: Header=BB12_115 Depth=2
	s_or_b64 exec, exec, s[14:15]
	v_add_u32_e32 v13, 64, v13
	v_cmp_le_i32_e32 vcc, s31, v13
	s_or_b64 s[12:13], vcc, s[12:13]
	v_add_u32_e32 v16, 0x200, v16
	s_andn2_b64 exec, exec, s[12:13]
	s_cbranch_execz .LBB12_120
.LBB12_115:                             ;   Parent Loop BB12_103 Depth=1
                                        ; =>  This Loop Header: Depth=2
                                        ;       Child Loop BB12_119 Depth 3
	v_lshl_add_u32 v17, v13, 3, s19
	s_waitcnt lgkmcnt(0)
	ds_read_b64 v[10:11], v17
	s_waitcnt lgkmcnt(0)
	v_div_scale_f64 v[18:19], s[14:15], v[8:9], v[8:9], v[10:11]
	v_rcp_f64_e32 v[20:21], v[18:19]
	v_div_scale_f64 v[22:23], vcc, v[10:11], v[8:9], v[10:11]
	v_fma_f64 v[24:25], -v[18:19], v[20:21], 1.0
	v_fmac_f64_e32 v[20:21], v[20:21], v[24:25]
	v_fma_f64 v[24:25], -v[18:19], v[20:21], 1.0
	v_fmac_f64_e32 v[20:21], v[20:21], v[24:25]
	v_mul_f64 v[24:25], v[22:23], v[20:21]
	v_fma_f64 v[18:19], -v[18:19], v[24:25], v[22:23]
	v_div_fmas_f64 v[18:19], v[18:19], v[20:21], v[24:25]
	v_div_fixup_f64 v[10:11], v[18:19], v[8:9], v[10:11]
	s_and_saveexec_b64 s[14:15], s[4:5]
	s_cbranch_execz .LBB12_117
; %bb.116:                              ;   in Loop: Header=BB12_115 Depth=2
	ds_write_b64 v17, v[10:11]
.LBB12_117:                             ;   in Loop: Header=BB12_115 Depth=2
	s_or_b64 exec, exec, s[14:15]
	s_and_saveexec_b64 s[14:15], s[8:9]
	s_cbranch_execz .LBB12_114
; %bb.118:                              ;   in Loop: Header=BB12_115 Depth=2
	s_mov_b64 s[16:17], 0
	v_mov_b32_e32 v17, v15
	v_mov_b32_e32 v18, v14
.LBB12_119:                             ;   Parent Loop BB12_103 Depth=1
                                        ;     Parent Loop BB12_115 Depth=2
                                        ; =>    This Inner Loop Header: Depth=3
	v_add_u32_e32 v19, v17, v16
	ds_read_b64 v[20:21], v17
	ds_read_b64 v[22:23], v19 offset:8
	v_add_u32_e32 v18, 1, v18
	v_cmp_le_i32_e32 vcc, s31, v18
	v_add_u32_e32 v17, 0x208, v17
	s_or_b64 s[16:17], vcc, s[16:17]
	s_waitcnt lgkmcnt(0)
	v_fma_f64 v[20:21], -v[10:11], v[20:21], v[22:23]
	ds_write_b64 v19, v[20:21] offset:8
	s_andn2_b64 exec, exec, s[16:17]
	s_cbranch_execnz .LBB12_119
	s_branch .LBB12_114
.LBB12_120:                             ;   in Loop: Header=BB12_103 Depth=1
	s_or_b64 exec, exec, s[10:11]
	s_cbranch_execnz .LBB12_111
.LBB12_121:                             ;   in Loop: Header=BB12_103 Depth=1
	s_add_i32 s22, s18, 1
	s_mov_b64 s[38:39], -1
	s_cmp_eq_u32 s22, s31
	s_cbranch_scc1 .LBB12_123
.LBB12_122:                             ;   in Loop: Header=BB12_103 Depth=1
	s_mov_b32 s18, s22
	s_branch .LBB12_103
.LBB12_123:
	s_waitcnt lgkmcnt(0)
	s_and_saveexec_b64 s[2:3], s[0:1]
	s_cbranch_execz .LBB12_133
; %bb.124:
	s_mul_i32 s14, s40, s31
	v_bfe_u32 v1, v0, 10, 10
	s_cmp_lg_u32 s42, 0
	v_add_u32_e32 v2, s14, v6
	s_movk_i32 s6, 0x208
	v_cmp_gt_u32_e64 s[0:1], s31, v1
	s_cselect_b64 s[4:5], -1, 0
	v_mul_lo_u32 v8, s31, v2
	s_lshl_b32 s15, s31, 6
	v_mad_u32_u24 v7, v1, s6, v7
	s_mov_b64 s[6:7], 0
	s_branch .LBB12_126
.LBB12_125:                             ;   in Loop: Header=BB12_126 Depth=1
	s_or_b64 exec, exec, s[8:9]
	v_add_u32_e32 v6, 64, v6
	v_cmp_le_i32_e32 vcc, s31, v6
	v_add_u32_e32 v8, s15, v8
	s_or_b64 s[6:7], vcc, s[6:7]
	v_add_u32_e32 v7, 0x200, v7
	s_andn2_b64 exec, exec, s[6:7]
	s_cbranch_execz .LBB12_133
.LBB12_126:                             ; =>This Loop Header: Depth=1
                                        ;     Child Loop BB12_129 Depth 2
	s_and_saveexec_b64 s[8:9], s[0:1]
	s_cbranch_execz .LBB12_125
; %bb.127:                              ;   in Loop: Header=BB12_126 Depth=1
	s_mov_b64 s[10:11], 0
	v_mov_b32_e32 v9, v7
	v_mov_b32_e32 v10, v1
	s_branch .LBB12_129
.LBB12_128:                             ;   in Loop: Header=BB12_129 Depth=2
	v_ashrrev_i32_e32 v5, 31, v4
	v_lshlrev_b64 v[4:5], 3, v[4:5]
	v_mov_b32_e32 v11, s21
	v_add_co_u32_e32 v4, vcc, s20, v4
	v_addc_co_u32_e32 v5, vcc, v11, v5, vcc
	v_add_u32_e32 v10, 1, v10
	v_cmp_le_i32_e32 vcc, s31, v10
	s_or_b64 s[10:11], vcc, s[10:11]
	v_add_u32_e32 v9, 0x208, v9
	s_waitcnt lgkmcnt(0)
	global_store_dwordx2 v[4:5], v[2:3], off
	s_andn2_b64 exec, exec, s[10:11]
	s_cbranch_execz .LBB12_125
.LBB12_129:                             ;   Parent Loop BB12_126 Depth=1
                                        ; =>  This Inner Loop Header: Depth=2
	ds_read_b64 v[2:3], v9
	s_and_b64 vcc, exec, s[4:5]
	s_cbranch_vccz .LBB12_131
; %bb.130:                              ;   in Loop: Header=BB12_129 Depth=2
	v_add_u32_e32 v4, s14, v10
	v_mad_u64_u32 v[4:5], s[12:13], v4, s31, v[6:7]
	s_cbranch_execnz .LBB12_128
	s_branch .LBB12_132
.LBB12_131:                             ;   in Loop: Header=BB12_129 Depth=2
                                        ; implicit-def: $vgpr4
.LBB12_132:                             ;   in Loop: Header=BB12_129 Depth=2
	v_add_u32_e32 v4, v8, v10
	s_branch .LBB12_128
.LBB12_133:
	s_or_b64 exec, exec, s[2:3]
.LBB12_134:
	s_add_i32 s22, s40, 1
	s_cmp_ge_i32 s22, s33
	s_cbranch_scc1 .LBB12_169
; %bb.135:
	v_and_b32_e32 v1, 0x3ff, v0
	s_mul_i32 s4, s31, s22
	v_add_u32_e32 v2, s4, v1
	v_bfe_u32 v8, v0, 10, 10
	s_mul_i32 s23, s40, s31
	v_mul_lo_u32 v10, s31, v2
	v_lshlrev_b32_e32 v2, 3, v1
	s_movk_i32 s35, 0x208
	s_cmp_lg_u32 s42, 0
	v_mad_u32_u24 v11, v8, s35, v2
	v_add_u32_e32 v2, s23, v8
	s_cselect_b64 s[10:11], -1, 0
	s_cmp_gt_i32 s31, 0
	v_mul_lo_u32 v2, s31, v2
	s_cselect_b64 s[4:5], -1, 0
	v_add_u32_e32 v12, s31, v2
	v_mul_u32_u24_e32 v2, 0x208, v1
	v_lshlrev_b32_e32 v3, 3, v8
	v_add3_u32 v13, v2, v3, 8
	v_cndmask_b32_e64 v2, 0, 1, s[4:5]
	v_cmp_ne_u32_e64 s[4:5], 1, v2
	v_cndmask_b32_e64 v2, 0, 1, s[10:11]
	v_cmp_gt_i32_e64 s[0:1], s31, v1
	v_cmp_gt_i32_e64 s[2:3], s31, v8
	v_add_u32_e32 v9, 1, v8
	s_mul_i32 s24, s31, s31
	s_lshl_b32 s25, s31, 6
	s_add_i32 s40, s31, 1
	v_cmp_ne_u32_e64 s[6:7], 1, v2
.LBB12_136:                             ; =>This Loop Header: Depth=1
                                        ;     Child Loop BB12_139 Depth 2
                                        ;       Child Loop BB12_142 Depth 3
                                        ;     Child Loop BB12_149 Depth 2
                                        ;       Child Loop BB12_152 Depth 3
                                        ;         Child Loop BB12_155 Depth 4
                                        ;     Child Loop BB12_160 Depth 2
                                        ;       Child Loop BB12_163 Depth 3
	s_mul_i32 s41, s22, s31
	s_and_saveexec_b64 s[8:9], s[0:1]
	s_cbranch_execz .LBB12_146
; %bb.137:                              ;   in Loop: Header=BB12_136 Depth=1
	s_mov_b64 s[12:13], 0
	v_mov_b32_e32 v3, v11
	v_mov_b32_e32 v6, v10
	;; [unrolled: 1-line block ×3, first 2 shown]
	s_branch .LBB12_139
.LBB12_138:                             ;   in Loop: Header=BB12_139 Depth=2
	s_or_b64 exec, exec, s[14:15]
	v_add_u32_e32 v2, 64, v2
	v_cmp_le_i32_e32 vcc, s31, v2
	v_add_u32_e32 v6, s25, v6
	s_or_b64 s[12:13], vcc, s[12:13]
	v_add_u32_e32 v3, 0x200, v3
	s_andn2_b64 exec, exec, s[12:13]
	s_cbranch_execz .LBB12_146
.LBB12_139:                             ;   Parent Loop BB12_136 Depth=1
                                        ; =>  This Loop Header: Depth=2
                                        ;       Child Loop BB12_142 Depth 3
	s_and_saveexec_b64 s[14:15], s[2:3]
	s_cbranch_execz .LBB12_138
; %bb.140:                              ;   in Loop: Header=BB12_139 Depth=2
	s_mov_b64 s[16:17], 0
	v_mov_b32_e32 v7, v3
	v_mov_b32_e32 v14, v8
	s_branch .LBB12_142
.LBB12_141:                             ;   in Loop: Header=BB12_142 Depth=3
	v_ashrrev_i32_e32 v5, 31, v4
	v_lshlrev_b64 v[4:5], 3, v[4:5]
	v_mov_b32_e32 v15, s21
	v_add_co_u32_e32 v4, vcc, s20, v4
	v_addc_co_u32_e32 v5, vcc, v15, v5, vcc
	global_load_dwordx2 v[4:5], v[4:5], off
	v_add_u32_e32 v14, 1, v14
	v_cmp_le_i32_e32 vcc, s31, v14
	s_or_b64 s[16:17], vcc, s[16:17]
	s_waitcnt vmcnt(0)
	ds_write_b64 v7, v[4:5]
	v_add_u32_e32 v7, 0x208, v7
	s_andn2_b64 exec, exec, s[16:17]
	s_cbranch_execz .LBB12_138
.LBB12_142:                             ;   Parent Loop BB12_136 Depth=1
                                        ;     Parent Loop BB12_139 Depth=2
                                        ; =>    This Inner Loop Header: Depth=3
	s_and_b64 vcc, exec, s[10:11]
	s_cbranch_vccz .LBB12_144
; %bb.143:                              ;   in Loop: Header=BB12_142 Depth=3
	v_add_u32_e32 v4, s41, v14
	v_mad_u64_u32 v[4:5], s[18:19], v4, s31, v[2:3]
	s_cbranch_execnz .LBB12_141
	s_branch .LBB12_145
.LBB12_144:                             ;   in Loop: Header=BB12_142 Depth=3
                                        ; implicit-def: $vgpr4
.LBB12_145:                             ;   in Loop: Header=BB12_142 Depth=3
	v_add_u32_e32 v4, v6, v14
	s_branch .LBB12_141
.LBB12_146:                             ;   in Loop: Header=BB12_136 Depth=1
	s_or_b64 exec, exec, s[8:9]
	s_and_b64 vcc, exec, s[4:5]
	s_waitcnt lgkmcnt(0)
	s_cbranch_vccnz .LBB12_157
; %bb.147:                              ;   in Loop: Header=BB12_136 Depth=1
	s_mov_b32 s42, 0
	v_mov_b32_e32 v4, v13
	v_mov_b32_e32 v5, v12
	s_branch .LBB12_149
.LBB12_148:                             ;   in Loop: Header=BB12_149 Depth=2
	s_or_b64 exec, exec, s[12:13]
	s_add_i32 s42, s42, 1
	v_add_u32_e32 v5, s40, v5
	s_cmp_eq_u32 s42, s31
	v_add_u32_e32 v4, 8, v4
	s_cbranch_scc1 .LBB12_157
.LBB12_149:                             ;   Parent Loop BB12_136 Depth=1
                                        ; =>  This Loop Header: Depth=2
                                        ;       Child Loop BB12_152 Depth 3
                                        ;         Child Loop BB12_155 Depth 4
	s_and_saveexec_b64 s[12:13], s[0:1]
	s_cbranch_execz .LBB12_148
; %bb.150:                              ;   in Loop: Header=BB12_149 Depth=2
	v_add_u32_e32 v6, s42, v9
	s_add_i32 s43, s42, s23
	v_cmp_gt_i32_e64 s[8:9], s31, v6
	s_mul_i32 s43, s43, s31
	s_mov_b64 s[14:15], 0
	v_mov_b32_e32 v7, v4
	v_mov_b32_e32 v14, v1
	s_branch .LBB12_152
.LBB12_151:                             ;   in Loop: Header=BB12_152 Depth=3
	s_or_b64 exec, exec, s[16:17]
	v_add_u32_e32 v14, 64, v14
	v_cmp_le_i32_e32 vcc, s31, v14
	s_or_b64 s[14:15], vcc, s[14:15]
	v_add_u32_e32 v7, 0x8200, v7
	s_andn2_b64 exec, exec, s[14:15]
	s_cbranch_execz .LBB12_148
.LBB12_152:                             ;   Parent Loop BB12_136 Depth=1
                                        ;     Parent Loop BB12_149 Depth=2
                                        ; =>    This Loop Header: Depth=3
                                        ;         Child Loop BB12_155 Depth 4
	s_and_saveexec_b64 s[16:17], s[8:9]
	s_cbranch_execz .LBB12_151
; %bb.153:                              ;   in Loop: Header=BB12_152 Depth=3
	v_mul_lo_u32 v2, v14, s35
	v_lshl_add_u32 v15, s42, 3, v2
	s_mov_b64 s[18:19], 0
	v_mov_b32_e32 v16, v7
	v_mov_b32_e32 v17, v5
	;; [unrolled: 1-line block ×3, first 2 shown]
	s_branch .LBB12_155
.LBB12_154:                             ;   in Loop: Header=BB12_155 Depth=4
	v_ashrrev_i32_e32 v3, 31, v2
	v_lshlrev_b64 v[2:3], 3, v[2:3]
	v_mov_b32_e32 v19, s21
	v_add_co_u32_e32 v2, vcc, s20, v2
	v_addc_co_u32_e32 v3, vcc, v19, v3, vcc
	global_load_dwordx2 v[2:3], v[2:3], off
	ds_read_b64 v[20:21], v15
	ds_read_b64 v[22:23], v16
	v_add_u32_e32 v18, 1, v18
	v_cmp_le_i32_e32 vcc, s31, v18
	v_add_u32_e32 v17, s31, v17
	s_or_b64 s[18:19], vcc, s[18:19]
	s_waitcnt vmcnt(0) lgkmcnt(0)
	v_fma_f64 v[2:3], -v[2:3], v[20:21], v[22:23]
	ds_write_b64 v16, v[2:3]
	v_add_u32_e32 v16, 8, v16
	s_andn2_b64 exec, exec, s[18:19]
	s_cbranch_execz .LBB12_151
.LBB12_155:                             ;   Parent Loop BB12_136 Depth=1
                                        ;     Parent Loop BB12_149 Depth=2
                                        ;       Parent Loop BB12_152 Depth=3
                                        ; =>      This Inner Loop Header: Depth=4
	s_and_b64 vcc, exec, s[6:7]
	v_mov_b32_e32 v2, v17
	s_cbranch_vccnz .LBB12_154
; %bb.156:                              ;   in Loop: Header=BB12_155 Depth=4
	v_add_u32_e32 v2, s43, v18
	s_branch .LBB12_154
.LBB12_157:                             ;   in Loop: Header=BB12_136 Depth=1
	s_waitcnt lgkmcnt(0)
	s_and_saveexec_b64 s[8:9], s[0:1]
	s_cbranch_execz .LBB12_167
; %bb.158:                              ;   in Loop: Header=BB12_136 Depth=1
	s_mov_b64 s[12:13], 0
	v_mov_b32_e32 v3, v11
	v_mov_b32_e32 v14, v10
	;; [unrolled: 1-line block ×3, first 2 shown]
	s_branch .LBB12_160
.LBB12_159:                             ;   in Loop: Header=BB12_160 Depth=2
	s_or_b64 exec, exec, s[14:15]
	v_add_u32_e32 v2, 64, v2
	v_cmp_le_i32_e32 vcc, s31, v2
	v_add_u32_e32 v14, s25, v14
	s_or_b64 s[12:13], vcc, s[12:13]
	v_add_u32_e32 v3, 0x200, v3
	s_andn2_b64 exec, exec, s[12:13]
	s_cbranch_execz .LBB12_167
.LBB12_160:                             ;   Parent Loop BB12_136 Depth=1
                                        ; =>  This Loop Header: Depth=2
                                        ;       Child Loop BB12_163 Depth 3
	s_and_saveexec_b64 s[14:15], s[2:3]
	s_cbranch_execz .LBB12_159
; %bb.161:                              ;   in Loop: Header=BB12_160 Depth=2
	s_mov_b64 s[16:17], 0
	v_mov_b32_e32 v15, v3
	v_mov_b32_e32 v16, v8
	s_branch .LBB12_163
.LBB12_162:                             ;   in Loop: Header=BB12_163 Depth=3
	v_ashrrev_i32_e32 v7, 31, v6
	v_lshlrev_b64 v[6:7], 3, v[6:7]
	v_mov_b32_e32 v17, s21
	v_add_co_u32_e32 v6, vcc, s20, v6
	v_addc_co_u32_e32 v7, vcc, v17, v7, vcc
	v_add_u32_e32 v16, 1, v16
	v_cmp_le_i32_e32 vcc, s31, v16
	s_or_b64 s[16:17], vcc, s[16:17]
	v_add_u32_e32 v15, 0x208, v15
	s_waitcnt lgkmcnt(0)
	global_store_dwordx2 v[6:7], v[4:5], off
	s_andn2_b64 exec, exec, s[16:17]
	s_cbranch_execz .LBB12_159
.LBB12_163:                             ;   Parent Loop BB12_136 Depth=1
                                        ;     Parent Loop BB12_160 Depth=2
                                        ; =>    This Inner Loop Header: Depth=3
	ds_read_b64 v[4:5], v15
	s_and_b64 vcc, exec, s[10:11]
	s_cbranch_vccz .LBB12_165
; %bb.164:                              ;   in Loop: Header=BB12_163 Depth=3
	v_add_u32_e32 v6, s41, v16
	v_mad_u64_u32 v[6:7], s[18:19], v6, s31, v[2:3]
	s_cbranch_execnz .LBB12_162
	s_branch .LBB12_166
.LBB12_165:                             ;   in Loop: Header=BB12_163 Depth=3
                                        ; implicit-def: $vgpr6
.LBB12_166:                             ;   in Loop: Header=BB12_163 Depth=3
	v_add_u32_e32 v6, v14, v16
	s_branch .LBB12_162
.LBB12_167:                             ;   in Loop: Header=BB12_136 Depth=1
	s_or_b64 exec, exec, s[8:9]
; %bb.168:                              ;   in Loop: Header=BB12_136 Depth=1
	s_add_i32 s22, s22, 1
	s_cmp_ge_i32 s22, s33
	v_add_u32_e32 v10, s24, v10
	s_cbranch_scc0 .LBB12_136
.LBB12_169:
	v_and_b32_e32 v1, 0x3ff, v0
	v_bfe_u32 v0, v0, 10, 10
	v_or_b32_e32 v0, v1, v0
	v_cmp_eq_u32_e32 vcc, 0, v0
	s_and_saveexec_b64 s[0:1], vcc
	s_cbranch_execz .LBB12_173
; %bb.170:
	s_add_u32 s0, s28, s36
	s_addc_u32 s1, s29, s37
	v_mov_b32_e32 v0, 0
	v_mov_b32_e32 v1, 1
	s_andn2_b64 vcc, exec, s[38:39]
	s_waitcnt vmcnt(0)
	global_store_dword v0, v1, s[0:1]
	s_cbranch_vccnz .LBB12_173
; %bb.171:
	v_mbcnt_lo_u32_b32 v0, exec_lo, 0
	v_mbcnt_hi_u32_b32 v0, exec_hi, v0
	v_cmp_eq_u32_e32 vcc, 0, v0
	s_and_b64 exec, exec, vcc
	s_cbranch_execz .LBB12_173
; %bb.172:
	s_add_i32 s0, s30, s34
	v_mov_b32_e32 v0, 0
	v_mov_b32_e32 v1, s0
	global_atomic_smin v0, v1, s[26:27]
.LBB12_173:
	s_endpgm
	.section	.rodata,"a",@progbits
	.p2align	6, 0x0
	.amdhsa_kernel _ZN9rocsparseL13bsrilu0_33_64ILj64ELj64ELj64EdEEv20rocsparse_direction_iPKiS3_PT2_S3_iPiS3_S6_21rocsparse_index_base_imNS_24const_host_device_scalarIfEENS8_IdEENS8_IS4_EEb
		.amdhsa_group_segment_fixed_size 33280
		.amdhsa_private_segment_fixed_size 0
		.amdhsa_kernarg_size 116
		.amdhsa_user_sgpr_count 6
		.amdhsa_user_sgpr_private_segment_buffer 1
		.amdhsa_user_sgpr_dispatch_ptr 0
		.amdhsa_user_sgpr_queue_ptr 0
		.amdhsa_user_sgpr_kernarg_segment_ptr 1
		.amdhsa_user_sgpr_dispatch_id 0
		.amdhsa_user_sgpr_flat_scratch_init 0
		.amdhsa_user_sgpr_kernarg_preload_length 0
		.amdhsa_user_sgpr_kernarg_preload_offset 0
		.amdhsa_user_sgpr_private_segment_size 0
		.amdhsa_uses_dynamic_stack 0
		.amdhsa_system_sgpr_private_segment_wavefront_offset 0
		.amdhsa_system_sgpr_workgroup_id_x 1
		.amdhsa_system_sgpr_workgroup_id_y 0
		.amdhsa_system_sgpr_workgroup_id_z 0
		.amdhsa_system_sgpr_workgroup_info 0
		.amdhsa_system_vgpr_workitem_id 1
		.amdhsa_next_free_vgpr 39
		.amdhsa_next_free_sgpr 68
		.amdhsa_accum_offset 40
		.amdhsa_reserve_vcc 1
		.amdhsa_reserve_flat_scratch 0
		.amdhsa_float_round_mode_32 0
		.amdhsa_float_round_mode_16_64 0
		.amdhsa_float_denorm_mode_32 3
		.amdhsa_float_denorm_mode_16_64 3
		.amdhsa_dx10_clamp 1
		.amdhsa_ieee_mode 1
		.amdhsa_fp16_overflow 0
		.amdhsa_tg_split 0
		.amdhsa_exception_fp_ieee_invalid_op 0
		.amdhsa_exception_fp_denorm_src 0
		.amdhsa_exception_fp_ieee_div_zero 0
		.amdhsa_exception_fp_ieee_overflow 0
		.amdhsa_exception_fp_ieee_underflow 0
		.amdhsa_exception_fp_ieee_inexact 0
		.amdhsa_exception_int_div_zero 0
	.end_amdhsa_kernel
	.section	.text._ZN9rocsparseL13bsrilu0_33_64ILj64ELj64ELj64EdEEv20rocsparse_direction_iPKiS3_PT2_S3_iPiS3_S6_21rocsparse_index_base_imNS_24const_host_device_scalarIfEENS8_IdEENS8_IS4_EEb,"axG",@progbits,_ZN9rocsparseL13bsrilu0_33_64ILj64ELj64ELj64EdEEv20rocsparse_direction_iPKiS3_PT2_S3_iPiS3_S6_21rocsparse_index_base_imNS_24const_host_device_scalarIfEENS8_IdEENS8_IS4_EEb,comdat
.Lfunc_end12:
	.size	_ZN9rocsparseL13bsrilu0_33_64ILj64ELj64ELj64EdEEv20rocsparse_direction_iPKiS3_PT2_S3_iPiS3_S6_21rocsparse_index_base_imNS_24const_host_device_scalarIfEENS8_IdEENS8_IS4_EEb, .Lfunc_end12-_ZN9rocsparseL13bsrilu0_33_64ILj64ELj64ELj64EdEEv20rocsparse_direction_iPKiS3_PT2_S3_iPiS3_S6_21rocsparse_index_base_imNS_24const_host_device_scalarIfEENS8_IdEENS8_IS4_EEb
                                        ; -- End function
	.section	.AMDGPU.csdata,"",@progbits
; Kernel info:
; codeLenInByte = 4608
; NumSgprs: 72
; NumVgprs: 39
; NumAgprs: 0
; TotalNumVgprs: 39
; ScratchSize: 0
; MemoryBound: 0
; FloatMode: 240
; IeeeMode: 1
; LDSByteSize: 33280 bytes/workgroup (compile time only)
; SGPRBlocks: 8
; VGPRBlocks: 4
; NumSGPRsForWavesPerEU: 72
; NumVGPRsForWavesPerEU: 39
; AccumOffset: 40
; Occupancy: 1
; WaveLimiterHint : 1
; COMPUTE_PGM_RSRC2:SCRATCH_EN: 0
; COMPUTE_PGM_RSRC2:USER_SGPR: 6
; COMPUTE_PGM_RSRC2:TRAP_HANDLER: 0
; COMPUTE_PGM_RSRC2:TGID_X_EN: 1
; COMPUTE_PGM_RSRC2:TGID_Y_EN: 0
; COMPUTE_PGM_RSRC2:TGID_Z_EN: 0
; COMPUTE_PGM_RSRC2:TIDIG_COMP_CNT: 1
; COMPUTE_PGM_RSRC3_GFX90A:ACCUM_OFFSET: 9
; COMPUTE_PGM_RSRC3_GFX90A:TG_SPLIT: 0
	.section	.text._ZN9rocsparseL15bsrilu0_generalILj128ELj64ELb0EdEEv20rocsparse_direction_iPKiS3_PT2_S3_iPiS3_S6_21rocsparse_index_base_imNS_24const_host_device_scalarIfEENS8_IdEENS8_IS4_EEb,"axG",@progbits,_ZN9rocsparseL15bsrilu0_generalILj128ELj64ELb0EdEEv20rocsparse_direction_iPKiS3_PT2_S3_iPiS3_S6_21rocsparse_index_base_imNS_24const_host_device_scalarIfEENS8_IdEENS8_IS4_EEb,comdat
	.globl	_ZN9rocsparseL15bsrilu0_generalILj128ELj64ELb0EdEEv20rocsparse_direction_iPKiS3_PT2_S3_iPiS3_S6_21rocsparse_index_base_imNS_24const_host_device_scalarIfEENS8_IdEENS8_IS4_EEb ; -- Begin function _ZN9rocsparseL15bsrilu0_generalILj128ELj64ELb0EdEEv20rocsparse_direction_iPKiS3_PT2_S3_iPiS3_S6_21rocsparse_index_base_imNS_24const_host_device_scalarIfEENS8_IdEENS8_IS4_EEb
	.p2align	8
	.type	_ZN9rocsparseL15bsrilu0_generalILj128ELj64ELb0EdEEv20rocsparse_direction_iPKiS3_PT2_S3_iPiS3_S6_21rocsparse_index_base_imNS_24const_host_device_scalarIfEENS8_IdEENS8_IS4_EEb,@function
_ZN9rocsparseL15bsrilu0_generalILj128ELj64ELb0EdEEv20rocsparse_direction_iPKiS3_PT2_S3_iPiS3_S6_21rocsparse_index_base_imNS_24const_host_device_scalarIfEENS8_IdEENS8_IS4_EEb: ; @_ZN9rocsparseL15bsrilu0_generalILj128ELj64ELb0EdEEv20rocsparse_direction_iPKiS3_PT2_S3_iPiS3_S6_21rocsparse_index_base_imNS_24const_host_device_scalarIfEENS8_IdEENS8_IS4_EEb
; %bb.0:
	s_load_dword s0, s[4:5], 0x70
	s_load_dwordx2 s[28:29], s[4:5], 0x48
	s_load_dwordx8 s[20:27], s[4:5], 0x50
	s_waitcnt lgkmcnt(0)
	s_bitcmp1_b32 s0, 0
	s_cselect_b64 s[0:1], -1, 0
	s_cmp_lg_u32 s29, 0
	s_cselect_b64 s[34:35], -1, 0
	s_cmp_eq_u32 s29, 0
	s_cselect_b64 s[2:3], -1, 0
	s_and_b64 s[8:9], s[2:3], exec
	s_cselect_b32 s10, 0, s24
	s_cselect_b32 s11, 0, s25
	s_or_b64 s[0:1], s[2:3], s[0:1]
	s_xor_b64 s[8:9], s[0:1], -1
	s_and_b64 vcc, exec, s[0:1]
	s_cbranch_vccnz .LBB13_2
; %bb.1:
	s_load_dword s0, s[22:23], 0x0
	s_mov_b64 s[10:11], s[24:25]
	s_waitcnt lgkmcnt(0)
	v_mov_b32_e32 v32, s0
	s_branch .LBB13_3
.LBB13_2:
	v_mov_b32_e32 v1, s22
	v_cndmask_b32_e64 v32, v1, 0, s[2:3]
.LBB13_3:
	v_cndmask_b32_e64 v1, 0, 1, s[8:9]
	v_cmp_ne_u32_e64 s[0:1], 1, v1
	s_andn2_b64 vcc, exec, s[8:9]
	v_pk_mov_b32 v[10:11], s[10:11], s[10:11] op_sel:[0,1]
	s_cbranch_vccnz .LBB13_5
; %bb.4:
	v_pk_mov_b32 v[2:3], s[24:25], s[24:25] op_sel:[0,1]
	flat_load_dwordx2 v[10:11], v[2:3]
.LBB13_5:
	s_and_b64 s[2:3], s[2:3], exec
	s_cselect_b32 s3, 0, s27
	s_cselect_b32 s2, 0, s26
	s_and_b64 vcc, exec, s[0:1]
	v_pk_mov_b32 v[6:7], s[2:3], s[2:3] op_sel:[0,1]
	s_cbranch_vccnz .LBB13_7
; %bb.6:
	v_pk_mov_b32 v[2:3], s[26:27], s[26:27] op_sel:[0,1]
	flat_load_dwordx2 v[6:7], v[2:3]
.LBB13_7:
	s_load_dwordx2 s[30:31], s[4:5], 0x0
	s_lshl_b32 s0, s6, 1
	v_lshrrev_b32_e32 v1, 6, v0
	s_and_b32 s0, s0, 0x3fffffe
	v_or_b32_e32 v1, s0, v1
	s_waitcnt lgkmcnt(0)
	v_cmp_gt_i32_e32 vcc, s31, v1
	s_and_saveexec_b64 s[0:1], vcc
	s_cbranch_execz .LBB13_152
; %bb.8:
	s_load_dwordx4 s[24:27], s[4:5], 0x30
	s_load_dwordx2 s[22:23], s[4:5], 0x40
	v_lshlrev_b32_e32 v1, 2, v1
	s_load_dwordx8 s[12:19], s[4:5], 0x8
	v_and_b32_e32 v0, 63, v0
	s_waitcnt lgkmcnt(0)
	global_load_dword v2, v1, s[26:27]
	s_mov_b64 s[0:1], -1
	v_mov_b32_e32 v1, s19
	s_waitcnt vmcnt(0)
	v_ashrrev_i32_e32 v3, 31, v2
	v_lshlrev_b64 v[4:5], 2, v[2:3]
	v_add_co_u32_e32 v8, vcc, s18, v4
	v_addc_co_u32_e32 v9, vcc, v1, v5, vcc
	global_load_dword v8, v[8:9], off
	s_waitcnt vmcnt(0)
	v_cmp_ne_u32_e32 vcc, -1, v8
	s_and_saveexec_b64 s[26:27], vcc
	s_cbranch_execz .LBB13_146
; %bb.9:
	v_mov_b32_e32 v1, s13
	v_add_co_u32_e32 v12, vcc, s12, v4
	v_addc_co_u32_e32 v13, vcc, v1, v5, vcc
	global_load_dwordx2 v[12:13], v[12:13], off
	s_load_dword s29, s[4:5], 0x28
	s_mov_b64 s[6:7], 0
	s_waitcnt vmcnt(0)
	v_subrev_u32_e32 v12, s28, v12
	v_subrev_u32_e32 v1, s28, v13
	v_cmp_lt_i32_e32 vcc, v12, v8
	s_and_saveexec_b64 s[36:37], vcc
	s_cbranch_execz .LBB13_81
; %bb.10:
	s_waitcnt lgkmcnt(0)
	s_cmp_gt_i32 s29, 0
	s_cselect_b64 s[6:7], -1, 0
	s_cmp_lg_u32 s30, 0
	s_cselect_b64 s[38:39], -1, 0
	v_add_u32_e32 v14, v12, v0
	s_add_i32 s31, s31, 1
	v_ashrrev_i32_e32 v15, 31, v14
	s_add_u32 s33, s12, 4
	v_lshlrev_b64 v[16:17], 2, v[14:15]
	s_addc_u32 s60, s13, 0
	v_cndmask_b32_e64 v13, 0, 1, s[6:7]
	v_mov_b32_e32 v3, s15
	v_add_co_u32_e32 v16, vcc, s14, v16
	s_add_u32 s61, s14, 0x100
	v_mad_u64_u32 v[18:19], s[8:9], s29, v12, v[0:1]
	v_cmp_ne_u32_e64 s[6:7], 1, v13
	v_mbcnt_lo_u32_b32 v13, -1, 0
	v_cmp_gt_i32_e64 s[0:1], s29, v0
	v_cmp_le_i32_e64 s[2:3], s29, v0
	v_cmp_lt_i32_e64 s[4:5], v14, v1
	v_addc_co_u32_e32 v17, vcc, v3, v17, vcc
	s_addc_u32 s62, s15, 0
	v_mul_lo_u32 v9, s29, v18
	s_mul_i32 s63, s29, s29
	s_lshl_b32 s64, s29, 6
	s_mov_b64 s[44:45], 0
	s_mov_b64 s[12:13], 0
	v_mov_b32_e32 v15, s19
	v_mbcnt_hi_u32_b32 v33, -1, v13
                                        ; implicit-def: $sgpr40_sgpr41
                                        ; implicit-def: $sgpr42_sgpr43
	s_branch .LBB13_13
.LBB13_11:                              ;   in Loop: Header=BB13_13 Depth=1
	s_or_b64 exec, exec, s[10:11]
	s_andn2_b64 s[10:11], s[42:43], exec
	s_and_b64 s[42:43], s[44:45], exec
	s_or_b64 s[42:43], s[10:11], s[42:43]
.LBB13_12:                              ;   in Loop: Header=BB13_13 Depth=1
	s_or_b64 exec, exec, s[46:47]
	v_add_u32_e32 v12, 1, v12
	v_cmp_ge_i32_e32 vcc, v12, v8
	s_xor_b64 s[8:9], s[8:9], -1
	s_or_b64 s[8:9], s[8:9], vcc
	s_and_b64 s[8:9], exec, s[8:9]
	s_or_b64 s[12:13], s[8:9], s[12:13]
	s_andn2_b64 s[8:9], s[40:41], exec
	s_and_b64 s[10:11], s[42:43], exec
	v_add_u32_e32 v9, s63, v9
	s_or_b64 s[40:41], s[8:9], s[10:11]
	s_mov_b64 s[44:45], s[42:43]
	s_andn2_b64 exec, exec, s[12:13]
	s_cbranch_execz .LBB13_80
.LBB13_13:                              ; =>This Loop Header: Depth=1
                                        ;     Child Loop BB13_16 Depth 2
                                        ;     Child Loop BB13_21 Depth 2
                                        ;       Child Loop BB13_26 Depth 3
                                        ;         Child Loop BB13_36 Depth 4
                                        ;     Child Loop BB13_54 Depth 2
                                        ;       Child Loop BB13_59 Depth 3
                                        ;       Child Loop BB13_66 Depth 3
                                        ;         Child Loop BB13_69 Depth 4
                                        ;           Child Loop BB13_71 Depth 5
	v_ashrrev_i32_e32 v13, 31, v12
	v_lshlrev_b64 v[18:19], 2, v[12:13]
	v_add_co_u32_e32 v18, vcc, s14, v18
	v_addc_co_u32_e32 v19, vcc, v3, v19, vcc
	global_load_dword v13, v[18:19], off
	s_or_b64 s[42:43], s[42:43], exec
	s_waitcnt vmcnt(0)
	v_subrev_u32_e32 v18, s28, v13
	v_ashrrev_i32_e32 v19, 31, v18
	v_lshlrev_b64 v[18:19], 2, v[18:19]
	s_waitcnt lgkmcnt(0)
	v_add_co_u32_e32 v20, vcc, s18, v18
	v_addc_co_u32_e32 v21, vcc, v15, v19, vcc
	global_load_dword v23, v[20:21], off
	s_waitcnt vmcnt(0)
	v_cmp_ne_u32_e64 s[8:9], -1, v23
	s_and_saveexec_b64 s[46:47], s[8:9]
	s_cbranch_execz .LBB13_12
; %bb.14:                               ;   in Loop: Header=BB13_13 Depth=1
	v_mov_b32_e32 v13, s60
	v_add_co_u32_e32 v20, vcc, s33, v18
	v_addc_co_u32_e32 v21, vcc, v13, v19, vcc
	v_mov_b32_e32 v13, s25
	v_add_co_u32_e32 v18, vcc, s24, v18
	v_addc_co_u32_e32 v19, vcc, v13, v19, vcc
	global_load_dword v34, v[20:21], off
	global_load_dword v13, v[18:19], off glc
	s_waitcnt vmcnt(0)
	v_cmp_eq_u32_e32 vcc, 0, v13
	s_and_saveexec_b64 s[10:11], vcc
	s_cbranch_execz .LBB13_17
; %bb.15:                               ;   in Loop: Header=BB13_13 Depth=1
	s_mov_b64 s[48:49], 0
.LBB13_16:                              ;   Parent Loop BB13_13 Depth=1
                                        ; =>  This Inner Loop Header: Depth=2
	global_load_dword v13, v[18:19], off glc
	s_waitcnt vmcnt(0)
	v_cmp_ne_u32_e32 vcc, 0, v13
	s_or_b64 s[48:49], vcc, s[48:49]
	s_andn2_b64 exec, exec, s[48:49]
	s_cbranch_execnz .LBB13_16
.LBB13_17:                              ;   in Loop: Header=BB13_13 Depth=1
	s_or_b64 exec, exec, s[10:11]
	s_and_b64 vcc, exec, s[6:7]
	v_mul_lo_u32 v13, v12, s29
	buffer_wbinvl1_vol
	s_cbranch_vccnz .LBB13_50
; %bb.18:                               ;   in Loop: Header=BB13_13 Depth=1
	v_mul_lo_u32 v19, v23, s29
	s_mov_b64 s[48:49], 0
	v_mov_b32_e32 v18, 0
	s_branch .LBB13_21
.LBB13_19:                              ;   in Loop: Header=BB13_21 Depth=2
	s_or_b64 exec, exec, s[52:53]
	v_mov_b32_e32 v18, v35
.LBB13_20:                              ;   in Loop: Header=BB13_21 Depth=2
	s_or_b64 exec, exec, s[50:51]
	v_cmp_eq_u32_e32 vcc, s29, v18
	s_or_b64 s[48:49], vcc, s[48:49]
	s_andn2_b64 exec, exec, s[48:49]
	s_cbranch_execz .LBB13_49
.LBB13_21:                              ;   Parent Loop BB13_13 Depth=1
                                        ; =>  This Loop Header: Depth=2
                                        ;       Child Loop BB13_26 Depth 3
                                        ;         Child Loop BB13_36 Depth 4
	v_add_u32_e32 v35, 1, v18
	s_and_saveexec_b64 s[10:11], s[2:3]
	s_xor_b64 s[10:11], exec, s[10:11]
; %bb.22:                               ;   in Loop: Header=BB13_21 Depth=2
	v_add_u32_e32 v18, 1, v18
                                        ; implicit-def: $vgpr35
; %bb.23:                               ;   in Loop: Header=BB13_21 Depth=2
	s_andn2_saveexec_b64 s[50:51], s[10:11]
	s_cbranch_execz .LBB13_20
; %bb.24:                               ;   in Loop: Header=BB13_21 Depth=2
	v_add_u32_e32 v20, v18, v19
	v_mul_lo_u32 v36, v20, s29
	v_add_u32_e32 v20, v36, v18
	v_ashrrev_i32_e32 v21, 31, v20
	v_lshlrev_b64 v[20:21], 3, v[20:21]
	v_mov_b32_e32 v22, s17
	v_add_co_u32_e32 v20, vcc, s16, v20
	v_addc_co_u32_e32 v21, vcc, v22, v21, vcc
	global_load_dwordx2 v[20:21], v[20:21], off
	v_add_u32_e32 v22, v18, v13
	v_mul_lo_u32 v37, v22, s29
	v_cmp_gt_i32_e64 s[10:11], s29, v35
	s_mov_b64 s[52:53], 0
	v_mov_b32_e32 v38, v9
	v_mov_b32_e32 v22, v0
	s_branch .LBB13_26
.LBB13_25:                              ;   in Loop: Header=BB13_26 Depth=3
	s_or_b64 exec, exec, s[54:55]
	v_add_u32_e32 v22, 64, v22
	v_cmp_le_i32_e32 vcc, s29, v22
	s_or_b64 s[52:53], vcc, s[52:53]
	v_add_u32_e32 v38, s64, v38
	s_andn2_b64 exec, exec, s[52:53]
	s_cbranch_execz .LBB13_19
.LBB13_26:                              ;   Parent Loop BB13_13 Depth=1
                                        ;     Parent Loop BB13_21 Depth=2
                                        ; =>    This Loop Header: Depth=3
                                        ;         Child Loop BB13_36 Depth 4
	s_and_b64 vcc, exec, s[38:39]
	v_add_u32_e32 v26, v22, v37
	s_cbranch_vccz .LBB13_47
; %bb.27:                               ;   in Loop: Header=BB13_26 Depth=3
	v_add_u32_e32 v24, v22, v37
	v_add_u32_e32 v27, v22, v13
	s_cbranch_execnz .LBB13_29
.LBB13_28:                              ;   in Loop: Header=BB13_26 Depth=3
	v_mad_u64_u32 v[24:25], s[54:55], v27, s29, v[18:19]
.LBB13_29:                              ;   in Loop: Header=BB13_26 Depth=3
	v_ashrrev_i32_e32 v25, 31, v24
	v_lshlrev_b64 v[24:25], 3, v[24:25]
	v_mov_b32_e32 v28, s17
	v_add_co_u32_e32 v24, vcc, s16, v24
	v_addc_co_u32_e32 v25, vcc, v28, v25, vcc
	global_load_dwordx2 v[24:25], v[24:25], off
	s_and_b64 vcc, exec, s[38:39]
	s_cbranch_vccz .LBB13_48
; %bb.30:                               ;   in Loop: Header=BB13_26 Depth=3
	s_cbranch_execnz .LBB13_32
.LBB13_31:                              ;   in Loop: Header=BB13_26 Depth=3
	v_mad_u64_u32 v[26:27], s[54:55], v27, s29, v[18:19]
.LBB13_32:                              ;   in Loop: Header=BB13_26 Depth=3
	s_waitcnt vmcnt(0)
	v_div_scale_f64 v[28:29], s[54:55], v[20:21], v[20:21], v[24:25]
	v_rcp_f64_e32 v[30:31], v[28:29]
	v_div_scale_f64 v[40:41], vcc, v[24:25], v[20:21], v[24:25]
	v_ashrrev_i32_e32 v27, 31, v26
	v_fma_f64 v[42:43], -v[28:29], v[30:31], 1.0
	v_fmac_f64_e32 v[30:31], v[30:31], v[42:43]
	v_fma_f64 v[42:43], -v[28:29], v[30:31], 1.0
	v_fmac_f64_e32 v[30:31], v[30:31], v[42:43]
	v_mul_f64 v[42:43], v[40:41], v[30:31]
	v_fma_f64 v[28:29], -v[28:29], v[42:43], v[40:41]
	v_div_fmas_f64 v[28:29], v[28:29], v[30:31], v[42:43]
	v_lshlrev_b64 v[26:27], 3, v[26:27]
	v_div_fixup_f64 v[24:25], v[28:29], v[20:21], v[24:25]
	v_mov_b32_e32 v28, s17
	v_add_co_u32_e32 v26, vcc, s16, v26
	v_addc_co_u32_e32 v27, vcc, v28, v27, vcc
	global_store_dwordx2 v[26:27], v[24:25], off
	s_and_saveexec_b64 s[54:55], s[10:11]
	s_cbranch_execz .LBB13_25
; %bb.33:                               ;   in Loop: Header=BB13_26 Depth=3
	s_mov_b64 s[56:57], 0
	v_mov_b32_e32 v39, v35
	s_branch .LBB13_36
.LBB13_34:                              ;   in Loop: Header=BB13_36 Depth=4
	v_mov_b32_e32 v30, v40
.LBB13_35:                              ;   in Loop: Header=BB13_36 Depth=4
	v_ashrrev_i32_e32 v31, 31, v30
	s_waitcnt vmcnt(0)
	v_fma_f64 v[26:27], -v[24:25], v[26:27], v[28:29]
	v_lshlrev_b64 v[28:29], 3, v[30:31]
	v_mov_b32_e32 v30, s17
	v_add_co_u32_e32 v28, vcc, s16, v28
	v_addc_co_u32_e32 v29, vcc, v30, v29, vcc
	v_add_u32_e32 v39, 1, v39
	v_cmp_le_i32_e32 vcc, s29, v39
	s_or_b64 s[56:57], vcc, s[56:57]
	global_store_dwordx2 v[28:29], v[26:27], off
	s_andn2_b64 exec, exec, s[56:57]
	s_cbranch_execz .LBB13_25
.LBB13_36:                              ;   Parent Loop BB13_13 Depth=1
                                        ;     Parent Loop BB13_21 Depth=2
                                        ;       Parent Loop BB13_26 Depth=3
                                        ; =>      This Inner Loop Header: Depth=4
	s_and_b64 vcc, exec, s[38:39]
	s_cbranch_vccz .LBB13_44
; %bb.37:                               ;   in Loop: Header=BB13_36 Depth=4
	v_add_u32_e32 v26, v39, v19
	v_mad_u64_u32 v[26:27], s[58:59], v26, s29, v[18:19]
	s_cbranch_execnz .LBB13_39
.LBB13_38:                              ;   in Loop: Header=BB13_36 Depth=4
	v_add_u32_e32 v26, v36, v39
.LBB13_39:                              ;   in Loop: Header=BB13_36 Depth=4
	v_ashrrev_i32_e32 v27, 31, v26
	v_lshlrev_b64 v[26:27], 3, v[26:27]
	v_mov_b32_e32 v28, s17
	v_add_co_u32_e32 v26, vcc, s16, v26
	v_addc_co_u32_e32 v27, vcc, v28, v27, vcc
	global_load_dwordx2 v[26:27], v[26:27], off
	s_and_b64 vcc, exec, s[38:39]
	v_add_u32_e32 v30, v39, v13
	s_cbranch_vccz .LBB13_45
; %bb.40:                               ;   in Loop: Header=BB13_36 Depth=4
	v_mad_u64_u32 v[28:29], s[58:59], v30, s29, v[22:23]
	v_add_u32_e32 v40, v38, v39
	s_cbranch_execnz .LBB13_42
.LBB13_41:                              ;   in Loop: Header=BB13_36 Depth=4
	v_add_u32_e32 v28, v38, v39
.LBB13_42:                              ;   in Loop: Header=BB13_36 Depth=4
	v_ashrrev_i32_e32 v29, 31, v28
	v_lshlrev_b64 v[28:29], 3, v[28:29]
	v_mov_b32_e32 v31, s17
	v_add_co_u32_e32 v28, vcc, s16, v28
	v_addc_co_u32_e32 v29, vcc, v31, v29, vcc
	global_load_dwordx2 v[28:29], v[28:29], off
	s_and_b64 vcc, exec, s[38:39]
	s_cbranch_vccz .LBB13_46
; %bb.43:                               ;   in Loop: Header=BB13_36 Depth=4
	v_mad_u64_u32 v[30:31], s[58:59], v30, s29, v[22:23]
	s_cbranch_execnz .LBB13_35
	s_branch .LBB13_34
.LBB13_44:                              ;   in Loop: Header=BB13_36 Depth=4
                                        ; implicit-def: $vgpr26
	s_branch .LBB13_38
.LBB13_45:                              ;   in Loop: Header=BB13_36 Depth=4
                                        ; implicit-def: $vgpr28
	v_add_u32_e32 v40, v38, v39
	s_branch .LBB13_41
.LBB13_46:                              ;   in Loop: Header=BB13_36 Depth=4
                                        ; implicit-def: $vgpr30
	s_branch .LBB13_34
.LBB13_47:                              ;   in Loop: Header=BB13_26 Depth=3
                                        ; implicit-def: $vgpr24
	v_add_u32_e32 v27, v22, v13
	s_branch .LBB13_28
.LBB13_48:                              ;   in Loop: Header=BB13_26 Depth=3
                                        ; implicit-def: $vgpr26
	s_branch .LBB13_31
.LBB13_49:                              ;   in Loop: Header=BB13_13 Depth=1
	s_or_b64 exec, exec, s[48:49]
.LBB13_50:                              ;   in Loop: Header=BB13_13 Depth=1
	v_subrev_u32_e32 v28, s28, v34
	v_add_u32_e32 v18, 1, v23
	v_cmp_lt_i32_e32 vcc, v18, v28
	s_and_saveexec_b64 s[10:11], vcc
	s_cbranch_execz .LBB13_11
; %bb.51:                               ;   in Loop: Header=BB13_13 Depth=1
	v_mul_lo_u32 v29, s63, v18
	s_mov_b64 s[48:49], 0
	s_branch .LBB13_54
.LBB13_52:                              ;   in Loop: Header=BB13_54 Depth=2
	s_or_b64 exec, exec, s[50:51]
.LBB13_53:                              ;   in Loop: Header=BB13_54 Depth=2
	v_add_u32_e32 v18, 1, v18
	v_cmp_ge_i32_e32 vcc, v18, v28
	s_or_b64 s[48:49], vcc, s[48:49]
	v_add_u32_e32 v29, s63, v29
	s_andn2_b64 exec, exec, s[48:49]
	s_cbranch_execz .LBB13_11
.LBB13_54:                              ;   Parent Loop BB13_13 Depth=1
                                        ; =>  This Loop Header: Depth=2
                                        ;       Child Loop BB13_59 Depth 3
                                        ;       Child Loop BB13_66 Depth 3
                                        ;         Child Loop BB13_69 Depth 4
                                        ;           Child Loop BB13_71 Depth 5
	v_ashrrev_i32_e32 v19, 31, v18
	s_waitcnt lgkmcnt(0)
	v_lshlrev_b64 v[20:21], 2, v[18:19]
	v_mov_b32_e32 v19, s15
	v_add_co_u32_e32 v20, vcc, s14, v20
	v_addc_co_u32_e32 v21, vcc, v19, v21, vcc
	global_load_dword v19, v[20:21], off
	v_mov_b32_e32 v21, s31
	s_and_saveexec_b64 s[50:51], s[4:5]
	s_cbranch_execz .LBB13_56
; %bb.55:                               ;   in Loop: Header=BB13_54 Depth=2
	global_load_dword v20, v[16:17], off
	s_waitcnt vmcnt(0)
	v_subrev_u32_e32 v21, s28, v20
.LBB13_56:                              ;   in Loop: Header=BB13_54 Depth=2
	s_or_b64 exec, exec, s[50:51]
	s_waitcnt vmcnt(0)
	v_subrev_u32_e32 v19, s28, v19
	v_cmp_lt_i32_e32 vcc, v21, v19
	v_mov_b32_e32 v22, v14
	s_and_saveexec_b64 s[50:51], vcc
	s_cbranch_execz .LBB13_62
; %bb.57:                               ;   in Loop: Header=BB13_54 Depth=2
	s_mov_b64 s[52:53], 0
	v_mov_b32_e32 v20, v14
	s_branch .LBB13_59
.LBB13_58:                              ;   in Loop: Header=BB13_59 Depth=3
	s_or_b64 exec, exec, s[54:55]
	v_cmp_ge_i32_e32 vcc, v21, v19
	s_or_b64 s[52:53], vcc, s[52:53]
	v_mov_b32_e32 v20, v22
	s_andn2_b64 exec, exec, s[52:53]
	s_cbranch_execz .LBB13_61
.LBB13_59:                              ;   Parent Loop BB13_13 Depth=1
                                        ;     Parent Loop BB13_54 Depth=2
                                        ; =>    This Inner Loop Header: Depth=3
	v_add_u32_e32 v22, 64, v20
	v_cmp_lt_i32_e32 vcc, v22, v1
	v_mov_b32_e32 v21, s31
	s_and_saveexec_b64 s[54:55], vcc
	s_cbranch_execz .LBB13_58
; %bb.60:                               ;   in Loop: Header=BB13_59 Depth=3
	v_ashrrev_i32_e32 v21, 31, v20
	v_lshlrev_b64 v[20:21], 2, v[20:21]
	v_mov_b32_e32 v23, s62
	v_add_co_u32_e32 v20, vcc, s61, v20
	v_addc_co_u32_e32 v21, vcc, v23, v21, vcc
	global_load_dword v20, v[20:21], off
	s_waitcnt vmcnt(0)
	v_subrev_u32_e32 v21, s28, v20
	s_branch .LBB13_58
.LBB13_61:                              ;   in Loop: Header=BB13_54 Depth=2
	s_or_b64 exec, exec, s[52:53]
.LBB13_62:                              ;   in Loop: Header=BB13_54 Depth=2
	s_or_b64 exec, exec, s[50:51]
	v_cmp_eq_u32_e32 vcc, v21, v19
	s_cbranch_vccz .LBB13_53
; %bb.63:                               ;   in Loop: Header=BB13_54 Depth=2
	s_ff1_i32_b64 s19, vcc
	v_and_or_b32 v19, v33, 64, s19
	v_lshlrev_b32_e32 v19, 2, v19
	ds_bpermute_b32 v20, v19, v22
	s_and_saveexec_b64 s[50:51], s[0:1]
	s_cbranch_execz .LBB13_52
; %bb.64:                               ;   in Loop: Header=BB13_54 Depth=2
	v_mul_lo_u32 v19, v18, s29
	s_waitcnt lgkmcnt(0)
	v_mul_lo_u32 v21, v20, s29
	s_mov_b64 s[52:53], 0
	v_mov_b32_e32 v30, v9
	v_mov_b32_e32 v20, v0
	s_branch .LBB13_66
.LBB13_65:                              ;   in Loop: Header=BB13_66 Depth=3
	v_add_u32_e32 v20, 64, v20
	v_cmp_le_i32_e32 vcc, s29, v20
	s_or_b64 s[52:53], vcc, s[52:53]
	v_add_u32_e32 v30, s64, v30
	s_andn2_b64 exec, exec, s[52:53]
	s_cbranch_execz .LBB13_52
.LBB13_66:                              ;   Parent Loop BB13_13 Depth=1
                                        ;     Parent Loop BB13_54 Depth=2
                                        ; =>    This Loop Header: Depth=3
                                        ;         Child Loop BB13_69 Depth 4
                                        ;           Child Loop BB13_71 Depth 5
	v_add_u32_e32 v22, v20, v21
	v_mul_lo_u32 v31, v22, s29
	s_mov_b32 s19, 0
	v_mov_b32_e32 v34, v29
	s_branch .LBB13_69
.LBB13_67:                              ;   in Loop: Header=BB13_69 Depth=4
	v_add_u32_e32 v24, s19, v31
.LBB13_68:                              ;   in Loop: Header=BB13_69 Depth=4
	v_ashrrev_i32_e32 v25, 31, v24
	v_lshlrev_b64 v[24:25], 3, v[24:25]
	v_mov_b32_e32 v26, s17
	v_add_co_u32_e32 v24, vcc, s16, v24
	v_addc_co_u32_e32 v25, vcc, v26, v25, vcc
	global_load_dwordx2 v[26:27], v[24:25], off
	s_add_i32 s19, s19, 1
	s_cmp_eq_u32 s19, s29
	v_add_u32_e32 v34, 1, v34
	s_waitcnt vmcnt(0)
	v_add_f64 v[22:23], v[26:27], -v[22:23]
	global_store_dwordx2 v[24:25], v[22:23], off
	s_cbranch_scc1 .LBB13_65
.LBB13_69:                              ;   Parent Loop BB13_13 Depth=1
                                        ;     Parent Loop BB13_54 Depth=2
                                        ;       Parent Loop BB13_66 Depth=3
                                        ; =>      This Loop Header: Depth=4
                                        ;           Child Loop BB13_71 Depth 5
	v_add_u32_e32 v22, s19, v19
	v_mul_lo_u32 v35, v22, s29
	v_pk_mov_b32 v[22:23], 0, 0
	v_mov_b32_e32 v36, v34
	s_mov_b32 s56, 0
	s_branch .LBB13_71
.LBB13_70:                              ;   in Loop: Header=BB13_71 Depth=5
	v_ashrrev_i32_e32 v27, 31, v26
	v_lshlrev_b64 v[26:27], 3, v[26:27]
	v_mov_b32_e32 v37, s17
	v_add_co_u32_e32 v26, vcc, s16, v26
	v_addc_co_u32_e32 v27, vcc, v37, v27, vcc
	global_load_dwordx2 v[26:27], v[26:27], off
	s_add_i32 s56, s56, 1
	s_cmp_eq_u32 s29, s56
	v_add_u32_e32 v36, s29, v36
	s_waitcnt vmcnt(0)
	v_fmac_f64_e32 v[22:23], v[24:25], v[26:27]
	s_cbranch_scc1 .LBB13_77
.LBB13_71:                              ;   Parent Loop BB13_13 Depth=1
                                        ;     Parent Loop BB13_54 Depth=2
                                        ;       Parent Loop BB13_66 Depth=3
                                        ;         Parent Loop BB13_69 Depth=4
                                        ; =>        This Inner Loop Header: Depth=5
	s_and_b64 vcc, exec, s[38:39]
	s_cbranch_vccz .LBB13_76
; %bb.72:                               ;   in Loop: Header=BB13_71 Depth=5
	v_add_u32_e32 v24, s56, v13
	v_mad_u64_u32 v[24:25], s[54:55], v24, s29, v[20:21]
	s_cbranch_execnz .LBB13_74
.LBB13_73:                              ;   in Loop: Header=BB13_71 Depth=5
	v_add_u32_e32 v24, s56, v30
.LBB13_74:                              ;   in Loop: Header=BB13_71 Depth=5
	v_ashrrev_i32_e32 v25, 31, v24
	v_lshlrev_b64 v[24:25], 3, v[24:25]
	v_mov_b32_e32 v26, s17
	v_add_co_u32_e32 v24, vcc, s16, v24
	v_addc_co_u32_e32 v25, vcc, v26, v25, vcc
	global_load_dwordx2 v[24:25], v[24:25], off
	s_andn2_b64 vcc, exec, s[38:39]
	v_mov_b32_e32 v26, v36
	s_cbranch_vccnz .LBB13_70
; %bb.75:                               ;   in Loop: Header=BB13_71 Depth=5
	v_add_u32_e32 v26, s56, v35
	s_branch .LBB13_70
.LBB13_76:                              ;   in Loop: Header=BB13_71 Depth=5
                                        ; implicit-def: $vgpr24
	s_branch .LBB13_73
.LBB13_77:                              ;   in Loop: Header=BB13_69 Depth=4
	s_and_b64 vcc, exec, s[38:39]
	s_cbranch_vccz .LBB13_79
; %bb.78:                               ;   in Loop: Header=BB13_69 Depth=4
	v_add_u32_e32 v24, s19, v21
	v_mad_u64_u32 v[24:25], s[54:55], v24, s29, v[20:21]
	s_cbranch_execnz .LBB13_68
	s_branch .LBB13_67
.LBB13_79:                              ;   in Loop: Header=BB13_69 Depth=4
                                        ; implicit-def: $vgpr24
	s_branch .LBB13_67
.LBB13_80:
	s_or_b64 exec, exec, s[12:13]
	s_and_b64 s[6:7], s[40:41], exec
.LBB13_81:
	s_or_b64 exec, exec, s[36:37]
	v_ashrrev_i32_e32 v9, 31, v8
	v_lshlrev_b64 v[12:13], 2, v[8:9]
	v_mov_b32_e32 v3, s15
	v_add_co_u32_e32 v12, vcc, s14, v12
	v_addc_co_u32_e32 v13, vcc, v3, v13, vcc
	global_load_dword v3, v[12:13], off
	s_waitcnt lgkmcnt(0)
	s_cmp_gt_i32 s29, 0
	s_cselect_b64 s[8:9], -1, 0
	s_waitcnt vmcnt(0)
	v_subrev_u32_e32 v3, s28, v3
	v_cmp_eq_u32_e32 vcc, v3, v2
	s_and_b64 s[0:1], s[8:9], vcc
	s_and_saveexec_b64 s[10:11], s[0:1]
	s_cbranch_execz .LBB13_121
; %bb.82:
	s_cmp_eq_u64 s[20:21], 8
	v_cvt_f64_f32_e32 v[12:13], v32
	s_cselect_b64 vcc, -1, 0
	s_cmp_lg_u32 s30, 0
	v_mul_lo_u32 v3, v8, s29
	v_cndmask_b32_e64 v14, 0, 1, s[34:35]
	v_cndmask_b32_e32 v11, v13, v11, vcc
	v_cndmask_b32_e32 v10, v12, v10, vcc
	s_cselect_b64 s[12:13], -1, 0
	v_cmp_eq_u32_e64 s[0:1], 0, v0
	v_add3_u32 v9, v3, v0, 1
	s_lshl_b32 s31, s29, 6
	s_mov_b64 s[14:15], 0
	v_mov_b32_e32 v12, 0
	v_mov_b32_e32 v13, s17
	v_cmp_ne_u32_e64 s[2:3], 1, v14
	s_mov_b64 s[20:21], s[6:7]
                                        ; implicit-def: $sgpr18_sgpr19
	s_branch .LBB13_84
.LBB13_83:                              ;   in Loop: Header=BB13_84 Depth=1
	s_or_b64 exec, exec, s[4:5]
	v_cmp_eq_u32_e32 vcc, s29, v17
	s_or_b64 s[14:15], vcc, s[14:15]
	s_andn2_b64 s[4:5], s[18:19], exec
	s_and_b64 s[18:19], s[20:21], exec
	s_or_b64 s[18:19], s[4:5], s[18:19]
	v_mov_b32_e32 v12, v17
	s_andn2_b64 exec, exec, s[14:15]
	s_cbranch_execz .LBB13_120
.LBB13_84:                              ; =>This Loop Header: Depth=1
                                        ;     Child Loop BB13_94 Depth 2
                                        ;       Child Loop BB13_104 Depth 3
	v_add_u32_e32 v14, v12, v3
	v_mul_lo_u32 v26, v14, s29
	v_add_u32_e32 v14, v26, v12
	v_ashrrev_i32_e32 v15, 31, v14
	v_lshlrev_b64 v[14:15], 3, v[14:15]
	v_add_co_u32_e32 v18, vcc, s16, v14
	v_addc_co_u32_e32 v19, vcc, v13, v15, vcc
	global_load_dwordx2 v[14:15], v[18:19], off
	s_and_b64 vcc, exec, s[2:3]
	s_cbranch_vccnz .LBB13_89
; %bb.85:                               ;   in Loop: Header=BB13_84 Depth=1
	s_waitcnt vmcnt(0)
	v_xor_b32_e32 v16, 0x80000000, v15
	v_cmp_gt_f64_e32 vcc, 0, v[14:15]
	v_cndmask_b32_e32 v17, v15, v16, vcc
	v_cndmask_b32_e32 v16, v14, v14, vcc
	v_cmp_le_f64_e32 vcc, v[16:17], v[10:11]
	v_cndmask_b32_e32 v17, v15, v7, vcc
	v_cndmask_b32_e32 v16, v14, v6, vcc
	s_and_saveexec_b64 s[4:5], s[0:1]
	s_cbranch_execz .LBB13_87
; %bb.86:                               ;   in Loop: Header=BB13_84 Depth=1
	global_store_dwordx2 v[18:19], v[16:17], off
.LBB13_87:                              ;   in Loop: Header=BB13_84 Depth=1
	s_or_b64 exec, exec, s[4:5]
	s_mov_b64 s[4:5], -1
	s_mov_b64 s[34:35], 0
	s_cbranch_execz .LBB13_90
; %bb.88:                               ;   in Loop: Header=BB13_84 Depth=1
	s_waitcnt vmcnt(0)
	v_pk_mov_b32 v[14:15], v[16:17], v[16:17] op_sel:[0,1]
                                        ; implicit-def: $sgpr38_sgpr39
                                        ; implicit-def: $vgpr17
	s_and_saveexec_b64 s[36:37], s[4:5]
	s_xor_b64 s[36:37], exec, s[36:37]
	s_cbranch_execz .LBB13_118
	s_branch .LBB13_91
.LBB13_89:                              ;   in Loop: Header=BB13_84 Depth=1
	s_mov_b64 s[4:5], 0
                                        ; implicit-def: $vgpr16_vgpr17
	s_mov_b64 s[34:35], 0
.LBB13_90:                              ;   in Loop: Header=BB13_84 Depth=1
	s_waitcnt vmcnt(0)
	v_cmp_neq_f64_e32 vcc, 0, v[14:15]
	s_andn2_b64 s[4:5], s[4:5], exec
	s_and_b64 s[36:37], vcc, exec
	s_mov_b64 s[34:35], -1
	s_or_b64 s[4:5], s[4:5], s[36:37]
                                        ; implicit-def: $sgpr38_sgpr39
                                        ; implicit-def: $vgpr17
	s_and_saveexec_b64 s[36:37], s[4:5]
	s_xor_b64 s[36:37], exec, s[36:37]
	s_cbranch_execz .LBB13_118
.LBB13_91:                              ;   in Loop: Header=BB13_84 Depth=1
	v_add_u32_e32 v17, 1, v12
	v_add_u32_e32 v16, v17, v0
	v_cmp_gt_i32_e32 vcc, s29, v16
	s_and_saveexec_b64 s[38:39], vcc
	s_cbranch_execz .LBB13_117
; %bb.92:                               ;   in Loop: Header=BB13_84 Depth=1
	v_add_u32_e32 v18, v9, v12
	v_cmp_gt_i32_e64 s[4:5], s29, v17
	v_mul_lo_u32 v27, s29, v18
	s_mov_b64 s[40:41], 0
	s_branch .LBB13_94
.LBB13_93:                              ;   in Loop: Header=BB13_94 Depth=2
	s_or_b64 exec, exec, s[42:43]
	v_add_u32_e32 v16, 64, v16
	v_cmp_le_i32_e32 vcc, s29, v16
	s_or_b64 s[40:41], vcc, s[40:41]
	v_add_u32_e32 v27, s31, v27
	s_andn2_b64 exec, exec, s[40:41]
	s_cbranch_execz .LBB13_117
.LBB13_94:                              ;   Parent Loop BB13_84 Depth=1
                                        ; =>  This Loop Header: Depth=2
                                        ;       Child Loop BB13_104 Depth 3
	s_and_b64 vcc, exec, s[12:13]
	v_add_u32_e32 v20, v16, v26
	s_cbranch_vccz .LBB13_115
; %bb.95:                               ;   in Loop: Header=BB13_94 Depth=2
	v_add_u32_e32 v18, v16, v26
	s_cbranch_execnz .LBB13_97
.LBB13_96:                              ;   in Loop: Header=BB13_94 Depth=2
	v_add_u32_e32 v18, v16, v3
	v_mad_u64_u32 v[18:19], s[42:43], v18, s29, v[12:13]
.LBB13_97:                              ;   in Loop: Header=BB13_94 Depth=2
	v_ashrrev_i32_e32 v19, 31, v18
	v_lshlrev_b64 v[18:19], 3, v[18:19]
	v_add_co_u32_e32 v18, vcc, s16, v18
	v_addc_co_u32_e32 v19, vcc, v13, v19, vcc
	global_load_dwordx2 v[18:19], v[18:19], off
	s_and_b64 vcc, exec, s[12:13]
	s_cbranch_vccz .LBB13_116
; %bb.98:                               ;   in Loop: Header=BB13_94 Depth=2
	s_cbranch_execnz .LBB13_100
.LBB13_99:                              ;   in Loop: Header=BB13_94 Depth=2
	v_add_u32_e32 v20, v16, v3
	v_mad_u64_u32 v[20:21], s[42:43], v20, s29, v[12:13]
.LBB13_100:                             ;   in Loop: Header=BB13_94 Depth=2
	s_waitcnt vmcnt(0)
	v_div_scale_f64 v[22:23], s[42:43], v[14:15], v[14:15], v[18:19]
	v_rcp_f64_e32 v[24:25], v[22:23]
	v_div_scale_f64 v[28:29], vcc, v[18:19], v[14:15], v[18:19]
	v_ashrrev_i32_e32 v21, 31, v20
	v_fma_f64 v[30:31], -v[22:23], v[24:25], 1.0
	v_fmac_f64_e32 v[24:25], v[24:25], v[30:31]
	v_fma_f64 v[30:31], -v[22:23], v[24:25], 1.0
	v_fmac_f64_e32 v[24:25], v[24:25], v[30:31]
	v_mul_f64 v[30:31], v[28:29], v[24:25]
	v_fma_f64 v[22:23], -v[22:23], v[30:31], v[28:29]
	v_div_fmas_f64 v[22:23], v[22:23], v[24:25], v[30:31]
	v_lshlrev_b64 v[20:21], 3, v[20:21]
	v_div_fixup_f64 v[18:19], v[22:23], v[14:15], v[18:19]
	v_mov_b32_e32 v22, s17
	v_add_co_u32_e32 v20, vcc, s16, v20
	v_addc_co_u32_e32 v21, vcc, v22, v21, vcc
	global_store_dwordx2 v[20:21], v[18:19], off
	s_and_saveexec_b64 s[42:43], s[4:5]
	s_cbranch_execz .LBB13_93
; %bb.101:                              ;   in Loop: Header=BB13_94 Depth=2
	s_mov_b64 s[44:45], 0
	v_mov_b32_e32 v28, v17
	s_branch .LBB13_104
.LBB13_102:                             ;   in Loop: Header=BB13_104 Depth=3
	v_add_u32_e32 v24, v27, v28
.LBB13_103:                             ;   in Loop: Header=BB13_104 Depth=3
	v_ashrrev_i32_e32 v25, 31, v24
	s_waitcnt vmcnt(0)
	v_fma_f64 v[20:21], -v[18:19], v[20:21], v[22:23]
	v_lshlrev_b64 v[22:23], 3, v[24:25]
	v_mov_b32_e32 v24, s17
	v_add_co_u32_e32 v22, vcc, s16, v22
	v_addc_co_u32_e32 v23, vcc, v24, v23, vcc
	v_add_u32_e32 v28, 1, v28
	v_cmp_le_i32_e32 vcc, s29, v28
	s_or_b64 s[44:45], vcc, s[44:45]
	global_store_dwordx2 v[22:23], v[20:21], off
	s_andn2_b64 exec, exec, s[44:45]
	s_cbranch_execz .LBB13_93
.LBB13_104:                             ;   Parent Loop BB13_84 Depth=1
                                        ;     Parent Loop BB13_94 Depth=2
                                        ; =>    This Inner Loop Header: Depth=3
	s_and_b64 vcc, exec, s[12:13]
	v_add_u32_e32 v24, v28, v3
	s_cbranch_vccz .LBB13_112
; %bb.105:                              ;   in Loop: Header=BB13_104 Depth=3
	v_mad_u64_u32 v[20:21], s[46:47], v24, s29, v[12:13]
	s_cbranch_execnz .LBB13_107
.LBB13_106:                             ;   in Loop: Header=BB13_104 Depth=3
	v_add_u32_e32 v20, v26, v28
.LBB13_107:                             ;   in Loop: Header=BB13_104 Depth=3
	v_ashrrev_i32_e32 v21, 31, v20
	v_lshlrev_b64 v[20:21], 3, v[20:21]
	v_mov_b32_e32 v22, s17
	v_add_co_u32_e32 v20, vcc, s16, v20
	v_addc_co_u32_e32 v21, vcc, v22, v21, vcc
	global_load_dwordx2 v[20:21], v[20:21], off
	s_and_b64 vcc, exec, s[12:13]
	s_cbranch_vccz .LBB13_113
; %bb.108:                              ;   in Loop: Header=BB13_104 Depth=3
	v_mad_u64_u32 v[22:23], s[46:47], v24, s29, v[16:17]
	s_cbranch_execnz .LBB13_110
.LBB13_109:                             ;   in Loop: Header=BB13_104 Depth=3
	v_add_u32_e32 v22, v27, v28
.LBB13_110:                             ;   in Loop: Header=BB13_104 Depth=3
	v_ashrrev_i32_e32 v23, 31, v22
	v_lshlrev_b64 v[22:23], 3, v[22:23]
	v_mov_b32_e32 v25, s17
	v_add_co_u32_e32 v22, vcc, s16, v22
	v_addc_co_u32_e32 v23, vcc, v25, v23, vcc
	global_load_dwordx2 v[22:23], v[22:23], off
	s_and_b64 vcc, exec, s[12:13]
	s_cbranch_vccz .LBB13_114
; %bb.111:                              ;   in Loop: Header=BB13_104 Depth=3
	v_mad_u64_u32 v[24:25], s[46:47], v24, s29, v[16:17]
	s_cbranch_execnz .LBB13_103
	s_branch .LBB13_102
.LBB13_112:                             ;   in Loop: Header=BB13_104 Depth=3
                                        ; implicit-def: $vgpr20
	s_branch .LBB13_106
.LBB13_113:                             ;   in Loop: Header=BB13_104 Depth=3
                                        ; implicit-def: $vgpr22
	s_branch .LBB13_109
.LBB13_114:                             ;   in Loop: Header=BB13_104 Depth=3
                                        ; implicit-def: $vgpr24
	s_branch .LBB13_102
.LBB13_115:                             ;   in Loop: Header=BB13_94 Depth=2
                                        ; implicit-def: $vgpr18
	s_branch .LBB13_96
.LBB13_116:                             ;   in Loop: Header=BB13_94 Depth=2
                                        ; implicit-def: $vgpr20
	s_branch .LBB13_99
.LBB13_117:                             ;   in Loop: Header=BB13_84 Depth=1
	s_or_b64 exec, exec, s[38:39]
	s_and_b64 s[38:39], s[20:21], exec
	s_andn2_b64 s[34:35], s[34:35], exec
.LBB13_118:                             ;   in Loop: Header=BB13_84 Depth=1
	s_or_b64 exec, exec, s[36:37]
	s_andn2_b64 s[4:5], s[20:21], exec
	s_and_b64 s[20:21], s[38:39], exec
	s_or_b64 s[20:21], s[4:5], s[20:21]
	s_and_saveexec_b64 s[4:5], s[34:35]
	s_cbranch_execz .LBB13_83
; %bb.119:                              ;   in Loop: Header=BB13_84 Depth=1
	v_add_u32_e32 v17, 1, v12
	s_or_b64 s[20:21], s[20:21], exec
	s_branch .LBB13_83
.LBB13_120:
	s_or_b64 exec, exec, s[14:15]
	s_andn2_b64 s[0:1], s[6:7], exec
	s_and_b64 s[2:3], s[18:19], exec
	s_or_b64 s[6:7], s[0:1], s[2:3]
.LBB13_121:
	s_or_b64 exec, exec, s[10:11]
	v_add_u32_e32 v3, 1, v8
	v_cmp_lt_i32_e32 vcc, v3, v1
	s_and_saveexec_b64 s[10:11], vcc
	s_cbranch_execz .LBB13_145
; %bb.122:
	v_mul_lo_u32 v14, v8, s29
	v_mul_lo_u32 v6, s29, v14
	s_mul_i32 s31, s29, s29
	v_add_u32_e32 v15, s29, v6
	v_mul_lo_u32 v6, s31, v3
	s_cmp_lg_u32 s30, 0
	v_add3_u32 v16, v6, s29, v0
	v_cndmask_b32_e64 v6, 0, 1, s[8:9]
	v_cmp_gt_i32_e64 s[0:1], s29, v0
	s_cselect_b64 s[12:13], -1, 0
	s_add_i32 s30, s29, 1
	s_mov_b64 s[14:15], 0
	v_cmp_ne_u32_e64 s[2:3], 1, v6
	s_branch .LBB13_124
.LBB13_123:                             ;   in Loop: Header=BB13_124 Depth=1
	v_add_u32_e32 v3, 1, v3
	v_cmp_ge_i32_e32 vcc, v3, v1
	s_or_b64 s[14:15], vcc, s[14:15]
	v_add_u32_e32 v16, s31, v16
	s_andn2_b64 exec, exec, s[14:15]
	s_cbranch_execz .LBB13_145
.LBB13_124:                             ; =>This Loop Header: Depth=1
                                        ;     Child Loop BB13_127 Depth 2
                                        ;       Child Loop BB13_130 Depth 3
                                        ;         Child Loop BB13_134 Depth 4
	s_and_b64 vcc, exec, s[2:3]
	s_cbranch_vccnz .LBB13_123
; %bb.125:                              ;   in Loop: Header=BB13_124 Depth=1
	v_mul_lo_u32 v17, v3, s29
	s_mov_b32 s33, 0
	v_mov_b32_e32 v18, v16
	v_mov_b32_e32 v19, v15
	s_branch .LBB13_127
.LBB13_126:                             ;   in Loop: Header=BB13_127 Depth=2
	s_or_b64 exec, exec, s[8:9]
	v_add_u32_e32 v19, s30, v19
	v_add_u32_e32 v18, s29, v18
	s_cmp_eq_u32 s34, s29
	s_mov_b32 s33, s34
	s_cbranch_scc1 .LBB13_123
.LBB13_127:                             ;   Parent Loop BB13_124 Depth=1
                                        ; =>  This Loop Header: Depth=2
                                        ;       Child Loop BB13_130 Depth 3
                                        ;         Child Loop BB13_134 Depth 4
	s_add_i32 s34, s33, 1
	s_and_saveexec_b64 s[8:9], s[0:1]
	s_cbranch_execz .LBB13_126
; %bb.128:                              ;   in Loop: Header=BB13_127 Depth=2
	s_cmp_lt_i32 s34, s29
	v_add_u32_e32 v6, s33, v14
	v_mul_lo_u32 v20, v6, s29
	v_add_u32_e32 v6, s33, v17
	s_cselect_b64 s[4:5], -1, 0
	v_mul_lo_u32 v21, v6, s29
	v_cndmask_b32_e64 v6, 0, 1, s[4:5]
	s_mov_b64 s[18:19], 0
	v_cmp_ne_u32_e64 s[4:5], 1, v6
	v_mov_b32_e32 v22, v18
	v_mov_b32_e32 v23, v0
	s_branch .LBB13_130
.LBB13_129:                             ;   in Loop: Header=BB13_130 Depth=3
	v_add_u32_e32 v23, 64, v23
	v_cmp_le_i32_e32 vcc, s29, v23
	s_or_b64 s[18:19], vcc, s[18:19]
	v_add_u32_e32 v22, 64, v22
	s_andn2_b64 exec, exec, s[18:19]
	s_cbranch_execz .LBB13_126
.LBB13_130:                             ;   Parent Loop BB13_124 Depth=1
                                        ;     Parent Loop BB13_127 Depth=2
                                        ; =>    This Loop Header: Depth=3
                                        ;         Child Loop BB13_134 Depth 4
	s_and_b64 vcc, exec, s[4:5]
	s_cbranch_vccnz .LBB13_129
; %bb.131:                              ;   in Loop: Header=BB13_130 Depth=3
	v_add_u32_e32 v6, v23, v17
	v_mul_lo_u32 v24, v6, s29
	v_add_u32_e32 v25, s33, v24
	v_add_u32_e32 v26, v23, v21
	s_mov_b32 s35, 0
	s_mov_b32 s36, s34
	s_branch .LBB13_134
.LBB13_132:                             ;   in Loop: Header=BB13_134 Depth=4
	v_mov_b32_e32 v10, v11
.LBB13_133:                             ;   in Loop: Header=BB13_134 Depth=4
	v_ashrrev_i32_e32 v11, 31, v10
	s_waitcnt vmcnt(0)
	v_fma_f64 v[6:7], -v[6:7], v[8:9], v[12:13]
	v_lshlrev_b64 v[8:9], 3, v[10:11]
	v_mov_b32_e32 v10, s17
	v_add_co_u32_e32 v8, vcc, s16, v8
	s_add_i32 s36, s36, 1
	s_add_i32 s35, s35, s29
	v_addc_co_u32_e32 v9, vcc, v10, v9, vcc
	s_cmp_ge_i32 s36, s29
	global_store_dwordx2 v[8:9], v[6:7], off
	s_cbranch_scc1 .LBB13_129
.LBB13_134:                             ;   Parent Loop BB13_124 Depth=1
                                        ;     Parent Loop BB13_127 Depth=2
                                        ;       Parent Loop BB13_130 Depth=3
                                        ; =>      This Inner Loop Header: Depth=4
	s_and_b64 vcc, exec, s[12:13]
	s_cbranch_vccz .LBB13_142
; %bb.135:                              ;   in Loop: Header=BB13_134 Depth=4
	v_add_u32_e32 v6, s36, v20
	v_mov_b32_e32 v8, v25
	s_cbranch_execnz .LBB13_137
.LBB13_136:                             ;   in Loop: Header=BB13_134 Depth=4
	v_add_u32_e32 v6, s35, v19
	v_mov_b32_e32 v8, v26
.LBB13_137:                             ;   in Loop: Header=BB13_134 Depth=4
	v_ashrrev_i32_e32 v7, 31, v6
	v_lshlrev_b64 v[6:7], 3, v[6:7]
	v_mov_b32_e32 v9, s17
	v_add_co_u32_e32 v10, vcc, s16, v6
	v_addc_co_u32_e32 v11, vcc, v9, v7, vcc
	v_ashrrev_i32_e32 v9, 31, v8
	v_lshlrev_b64 v[6:7], 3, v[8:9]
	v_mov_b32_e32 v8, s17
	v_add_co_u32_e32 v12, vcc, s16, v6
	v_addc_co_u32_e32 v13, vcc, v8, v7, vcc
	global_load_dwordx2 v[6:7], v[10:11], off
	global_load_dwordx2 v[8:9], v[12:13], off
	s_and_b64 vcc, exec, s[12:13]
	v_add_u32_e32 v10, s36, v24
	s_cbranch_vccz .LBB13_143
; %bb.138:                              ;   in Loop: Header=BB13_134 Depth=4
	v_add_u32_e32 v12, s36, v24
	v_add_u32_e32 v11, s35, v22
	s_cbranch_execnz .LBB13_140
.LBB13_139:                             ;   in Loop: Header=BB13_134 Depth=4
	v_add_u32_e32 v12, s35, v22
.LBB13_140:                             ;   in Loop: Header=BB13_134 Depth=4
	v_ashrrev_i32_e32 v13, 31, v12
	v_lshlrev_b64 v[12:13], 3, v[12:13]
	v_mov_b32_e32 v27, s17
	v_add_co_u32_e32 v12, vcc, s16, v12
	v_addc_co_u32_e32 v13, vcc, v27, v13, vcc
	global_load_dwordx2 v[12:13], v[12:13], off
	s_and_b64 vcc, exec, s[12:13]
	s_cbranch_vccz .LBB13_144
; %bb.141:                              ;   in Loop: Header=BB13_134 Depth=4
	s_cbranch_execnz .LBB13_133
	s_branch .LBB13_132
.LBB13_142:                             ;   in Loop: Header=BB13_134 Depth=4
                                        ; implicit-def: $vgpr6
	v_mov_b32_e32 v8, v25
	s_branch .LBB13_136
.LBB13_143:                             ;   in Loop: Header=BB13_134 Depth=4
                                        ; implicit-def: $vgpr12
	v_add_u32_e32 v11, s35, v22
	s_branch .LBB13_139
.LBB13_144:                             ;   in Loop: Header=BB13_134 Depth=4
                                        ; implicit-def: $vgpr10
	s_branch .LBB13_132
.LBB13_145:
	s_or_b64 exec, exec, s[10:11]
	s_orn2_b64 s[0:1], s[6:7], exec
.LBB13_146:
	s_or_b64 exec, exec, s[26:27]
	v_cmp_eq_u32_e32 vcc, 0, v0
	s_and_b64 exec, exec, vcc
	s_cbranch_execz .LBB13_152
; %bb.147:
	v_mov_b32_e32 v1, s25
	v_add_co_u32_e32 v0, vcc, s24, v4
	v_addc_co_u32_e32 v1, vcc, v1, v5, vcc
	v_mov_b32_e32 v3, 1
	s_waitcnt vmcnt(0)
	global_store_dword v[0:1], v3, off
	s_and_b64 exec, exec, s[0:1]
	s_cbranch_execz .LBB13_152
; %bb.148:
	s_mov_b64 s[0:1], exec
	v_add_u32_e32 v0, s28, v2
	s_brev_b32 s2, -2
.LBB13_149:                             ; =>This Inner Loop Header: Depth=1
	s_ff1_i32_b64 s3, s[0:1]
	v_readlane_b32 s6, v0, s3
	s_lshl_b64 s[4:5], 1, s3
	s_min_i32 s2, s2, s6
	s_andn2_b64 s[0:1], s[0:1], s[4:5]
	s_cmp_lg_u64 s[0:1], 0
	s_cbranch_scc1 .LBB13_149
; %bb.150:
	v_mbcnt_lo_u32_b32 v0, exec_lo, 0
	v_mbcnt_hi_u32_b32 v0, exec_hi, v0
	v_cmp_eq_u32_e32 vcc, 0, v0
	s_and_saveexec_b64 s[0:1], vcc
	s_xor_b64 s[0:1], exec, s[0:1]
	s_cbranch_execz .LBB13_152
; %bb.151:
	v_mov_b32_e32 v0, 0
	v_mov_b32_e32 v1, s2
	global_atomic_smin v0, v1, s[22:23]
.LBB13_152:
	s_endpgm
	.section	.rodata,"a",@progbits
	.p2align	6, 0x0
	.amdhsa_kernel _ZN9rocsparseL15bsrilu0_generalILj128ELj64ELb0EdEEv20rocsparse_direction_iPKiS3_PT2_S3_iPiS3_S6_21rocsparse_index_base_imNS_24const_host_device_scalarIfEENS8_IdEENS8_IS4_EEb
		.amdhsa_group_segment_fixed_size 0
		.amdhsa_private_segment_fixed_size 0
		.amdhsa_kernarg_size 116
		.amdhsa_user_sgpr_count 6
		.amdhsa_user_sgpr_private_segment_buffer 1
		.amdhsa_user_sgpr_dispatch_ptr 0
		.amdhsa_user_sgpr_queue_ptr 0
		.amdhsa_user_sgpr_kernarg_segment_ptr 1
		.amdhsa_user_sgpr_dispatch_id 0
		.amdhsa_user_sgpr_flat_scratch_init 0
		.amdhsa_user_sgpr_kernarg_preload_length 0
		.amdhsa_user_sgpr_kernarg_preload_offset 0
		.amdhsa_user_sgpr_private_segment_size 0
		.amdhsa_uses_dynamic_stack 0
		.amdhsa_system_sgpr_private_segment_wavefront_offset 0
		.amdhsa_system_sgpr_workgroup_id_x 1
		.amdhsa_system_sgpr_workgroup_id_y 0
		.amdhsa_system_sgpr_workgroup_id_z 0
		.amdhsa_system_sgpr_workgroup_info 0
		.amdhsa_system_vgpr_workitem_id 0
		.amdhsa_next_free_vgpr 44
		.amdhsa_next_free_sgpr 65
		.amdhsa_accum_offset 44
		.amdhsa_reserve_vcc 1
		.amdhsa_reserve_flat_scratch 0
		.amdhsa_float_round_mode_32 0
		.amdhsa_float_round_mode_16_64 0
		.amdhsa_float_denorm_mode_32 3
		.amdhsa_float_denorm_mode_16_64 3
		.amdhsa_dx10_clamp 1
		.amdhsa_ieee_mode 1
		.amdhsa_fp16_overflow 0
		.amdhsa_tg_split 0
		.amdhsa_exception_fp_ieee_invalid_op 0
		.amdhsa_exception_fp_denorm_src 0
		.amdhsa_exception_fp_ieee_div_zero 0
		.amdhsa_exception_fp_ieee_overflow 0
		.amdhsa_exception_fp_ieee_underflow 0
		.amdhsa_exception_fp_ieee_inexact 0
		.amdhsa_exception_int_div_zero 0
	.end_amdhsa_kernel
	.section	.text._ZN9rocsparseL15bsrilu0_generalILj128ELj64ELb0EdEEv20rocsparse_direction_iPKiS3_PT2_S3_iPiS3_S6_21rocsparse_index_base_imNS_24const_host_device_scalarIfEENS8_IdEENS8_IS4_EEb,"axG",@progbits,_ZN9rocsparseL15bsrilu0_generalILj128ELj64ELb0EdEEv20rocsparse_direction_iPKiS3_PT2_S3_iPiS3_S6_21rocsparse_index_base_imNS_24const_host_device_scalarIfEENS8_IdEENS8_IS4_EEb,comdat
.Lfunc_end13:
	.size	_ZN9rocsparseL15bsrilu0_generalILj128ELj64ELb0EdEEv20rocsparse_direction_iPKiS3_PT2_S3_iPiS3_S6_21rocsparse_index_base_imNS_24const_host_device_scalarIfEENS8_IdEENS8_IS4_EEb, .Lfunc_end13-_ZN9rocsparseL15bsrilu0_generalILj128ELj64ELb0EdEEv20rocsparse_direction_iPKiS3_PT2_S3_iPiS3_S6_21rocsparse_index_base_imNS_24const_host_device_scalarIfEENS8_IdEENS8_IS4_EEb
                                        ; -- End function
	.section	.AMDGPU.csdata,"",@progbits
; Kernel info:
; codeLenInByte = 3884
; NumSgprs: 69
; NumVgprs: 44
; NumAgprs: 0
; TotalNumVgprs: 44
; ScratchSize: 0
; MemoryBound: 0
; FloatMode: 240
; IeeeMode: 1
; LDSByteSize: 0 bytes/workgroup (compile time only)
; SGPRBlocks: 8
; VGPRBlocks: 5
; NumSGPRsForWavesPerEU: 69
; NumVGPRsForWavesPerEU: 44
; AccumOffset: 44
; Occupancy: 8
; WaveLimiterHint : 1
; COMPUTE_PGM_RSRC2:SCRATCH_EN: 0
; COMPUTE_PGM_RSRC2:USER_SGPR: 6
; COMPUTE_PGM_RSRC2:TRAP_HANDLER: 0
; COMPUTE_PGM_RSRC2:TGID_X_EN: 1
; COMPUTE_PGM_RSRC2:TGID_Y_EN: 0
; COMPUTE_PGM_RSRC2:TGID_Z_EN: 0
; COMPUTE_PGM_RSRC2:TIDIG_COMP_CNT: 0
; COMPUTE_PGM_RSRC3_GFX90A:ACCUM_OFFSET: 10
; COMPUTE_PGM_RSRC3_GFX90A:TG_SPLIT: 0
	.section	.text._ZN9rocsparseL15bsrilu0_generalILj128ELj64ELb1E21rocsparse_complex_numIfEEEv20rocsparse_direction_iPKiS5_PT2_S5_iPiS5_S8_21rocsparse_index_base_imNS_24const_host_device_scalarIfEENSA_IdEENSA_IS6_EEb,"axG",@progbits,_ZN9rocsparseL15bsrilu0_generalILj128ELj64ELb1E21rocsparse_complex_numIfEEEv20rocsparse_direction_iPKiS5_PT2_S5_iPiS5_S8_21rocsparse_index_base_imNS_24const_host_device_scalarIfEENSA_IdEENSA_IS6_EEb,comdat
	.globl	_ZN9rocsparseL15bsrilu0_generalILj128ELj64ELb1E21rocsparse_complex_numIfEEEv20rocsparse_direction_iPKiS5_PT2_S5_iPiS5_S8_21rocsparse_index_base_imNS_24const_host_device_scalarIfEENSA_IdEENSA_IS6_EEb ; -- Begin function _ZN9rocsparseL15bsrilu0_generalILj128ELj64ELb1E21rocsparse_complex_numIfEEEv20rocsparse_direction_iPKiS5_PT2_S5_iPiS5_S8_21rocsparse_index_base_imNS_24const_host_device_scalarIfEENSA_IdEENSA_IS6_EEb
	.p2align	8
	.type	_ZN9rocsparseL15bsrilu0_generalILj128ELj64ELb1E21rocsparse_complex_numIfEEEv20rocsparse_direction_iPKiS5_PT2_S5_iPiS5_S8_21rocsparse_index_base_imNS_24const_host_device_scalarIfEENSA_IdEENSA_IS6_EEb,@function
_ZN9rocsparseL15bsrilu0_generalILj128ELj64ELb1E21rocsparse_complex_numIfEEEv20rocsparse_direction_iPKiS5_PT2_S5_iPiS5_S8_21rocsparse_index_base_imNS_24const_host_device_scalarIfEENSA_IdEENSA_IS6_EEb: ; @_ZN9rocsparseL15bsrilu0_generalILj128ELj64ELb1E21rocsparse_complex_numIfEEEv20rocsparse_direction_iPKiS5_PT2_S5_iPiS5_S8_21rocsparse_index_base_imNS_24const_host_device_scalarIfEENSA_IdEENSA_IS6_EEb
; %bb.0:
	s_load_dword s0, s[4:5], 0x70
	s_load_dwordx2 s[28:29], s[4:5], 0x48
	s_load_dwordx8 s[20:27], s[4:5], 0x50
	s_waitcnt lgkmcnt(0)
	s_bitcmp1_b32 s0, 0
	s_cselect_b64 s[2:3], -1, 0
	s_cmp_lg_u32 s29, 0
	s_cselect_b64 s[8:9], -1, 0
	s_cmp_eq_u32 s29, 0
	s_cselect_b64 s[12:13], -1, 0
	s_and_b64 s[0:1], s[12:13], exec
	s_cselect_b32 s10, 0, s24
	s_cselect_b32 s11, 0, s25
	s_or_b64 s[14:15], s[12:13], s[2:3]
	s_xor_b64 s[0:1], s[14:15], -1
	s_and_b64 vcc, exec, s[14:15]
	s_cbranch_vccnz .LBB14_2
; %bb.1:
	s_load_dword s7, s[22:23], 0x0
	s_mov_b64 s[10:11], s[24:25]
	s_waitcnt lgkmcnt(0)
	v_mov_b32_e32 v36, s7
	s_andn2_b64 vcc, exec, s[0:1]
	v_pk_mov_b32 v[8:9], s[10:11], s[10:11] op_sel:[0,1]
	s_cbranch_vccz .LBB14_3
	s_branch .LBB14_4
.LBB14_2:
	v_mov_b32_e32 v1, s22
	v_cndmask_b32_e64 v36, v1, 0, s[12:13]
	s_andn2_b64 vcc, exec, s[0:1]
	v_pk_mov_b32 v[8:9], s[10:11], s[10:11] op_sel:[0,1]
	s_cbranch_vccnz .LBB14_4
.LBB14_3:
	v_pk_mov_b32 v[2:3], s[24:25], s[24:25] op_sel:[0,1]
	flat_load_dwordx2 v[8:9], v[2:3]
.LBB14_4:
	v_cndmask_b32_e64 v1, 0, 1, s[8:9]
	s_mov_b32 s60, 0
	v_cmp_ne_u32_e64 s[0:1], 1, v1
	s_andn2_b64 vcc, exec, s[8:9]
	s_mov_b32 s33, 0
	s_cbranch_vccnz .LBB14_10
; %bb.5:
	s_xor_b64 s[8:9], s[2:3], -1
	v_cndmask_b32_e64 v1, 0, 1, s[8:9]
	v_cmp_ne_u32_e64 s[2:3], 1, v1
	s_andn2_b64 vcc, exec, s[8:9]
	s_mov_b32 s33, s26
	s_cbranch_vccnz .LBB14_7
; %bb.6:
	s_load_dword s33, s[26:27], 0x0
.LBB14_7:
	s_and_b64 vcc, exec, s[2:3]
	s_cbranch_vccnz .LBB14_9
; %bb.8:
	s_load_dword s27, s[26:27], 0x4
.LBB14_9:
	s_waitcnt lgkmcnt(0)
	s_mov_b32 s60, s27
.LBB14_10:
	s_load_dwordx2 s[30:31], s[4:5], 0x0
	s_lshl_b32 s2, s6, 1
	v_lshrrev_b32_e32 v1, 6, v0
	s_and_b32 s2, s2, 0x3fffffe
	v_or_b32_e32 v1, s2, v1
	s_waitcnt lgkmcnt(0)
	v_cmp_gt_i32_e32 vcc, s31, v1
	s_and_saveexec_b64 s[2:3], vcc
	s_cbranch_execz .LBB14_163
; %bb.11:
	s_load_dwordx4 s[24:27], s[4:5], 0x30
	s_load_dwordx2 s[22:23], s[4:5], 0x40
	v_lshlrev_b32_e32 v1, 2, v1
	s_load_dwordx8 s[12:19], s[4:5], 0x8
	v_and_b32_e32 v0, 63, v0
	s_waitcnt lgkmcnt(0)
	global_load_dword v2, v1, s[26:27]
	s_mov_b64 s[2:3], -1
	v_mov_b32_e32 v1, s19
	s_waitcnt vmcnt(0)
	v_ashrrev_i32_e32 v3, 31, v2
	v_lshlrev_b64 v[4:5], 2, v[2:3]
	v_add_co_u32_e32 v6, vcc, s18, v4
	v_addc_co_u32_e32 v7, vcc, v1, v5, vcc
	global_load_dword v6, v[6:7], off
	s_waitcnt vmcnt(0)
	v_cmp_ne_u32_e32 vcc, -1, v6
	s_and_saveexec_b64 s[26:27], vcc
	s_cbranch_execz .LBB14_157
; %bb.12:
	v_mov_b32_e32 v1, s13
	v_add_co_u32_e32 v10, vcc, s12, v4
	v_addc_co_u32_e32 v11, vcc, v1, v5, vcc
	global_load_dwordx2 v[10:11], v[10:11], off
	s_load_dword s29, s[4:5], 0x28
	s_mov_b64 s[6:7], 0
	s_waitcnt vmcnt(0)
	v_subrev_u32_e32 v10, s28, v10
	v_subrev_u32_e32 v1, s28, v11
	v_cmp_lt_i32_e32 vcc, v10, v6
	s_and_saveexec_b64 s[34:35], vcc
	s_cbranch_execz .LBB14_86
; %bb.13:
	s_waitcnt lgkmcnt(0)
	s_cmp_gt_i32 s29, 0
	s_cselect_b64 s[36:37], -1, 0
	s_cmp_lg_u32 s30, 0
	s_cselect_b64 s[38:39], -1, 0
	v_add_u32_e32 v12, v10, v0
	s_add_i32 s31, s31, 1
	v_ashrrev_i32_e32 v13, 31, v12
	s_add_u32 s61, s12, 4
	v_lshlrev_b64 v[14:15], 2, v[12:13]
	s_addc_u32 s62, s13, 0
	v_mov_b32_e32 v3, s15
	v_add_co_u32_e32 v14, vcc, s14, v14
	s_add_u32 s63, s14, 0x100
	v_mad_u64_u32 v[16:17], s[8:9], s29, v10, v[0:1]
	v_mbcnt_lo_u32_b32 v11, -1, 0
	v_cmp_gt_i32_e64 s[2:3], s29, v0
	v_cmp_le_i32_e64 s[4:5], s29, v0
	v_cmp_lt_i32_e64 s[6:7], v12, v1
	v_addc_co_u32_e32 v15, vcc, v3, v15, vcc
	s_addc_u32 s64, s15, 0
	v_mul_lo_u32 v7, s29, v16
	s_mul_i32 s65, s29, s29
	s_lshl_b32 s66, s29, 6
	s_mov_b64 s[44:45], 0
	s_mov_b64 s[12:13], 0
	v_mov_b32_e32 v13, s19
	v_mbcnt_hi_u32_b32 v37, -1, v11
                                        ; implicit-def: $sgpr40_sgpr41
                                        ; implicit-def: $sgpr42_sgpr43
	s_branch .LBB14_16
.LBB14_14:                              ;   in Loop: Header=BB14_16 Depth=1
	s_or_b64 exec, exec, s[10:11]
	s_andn2_b64 s[10:11], s[42:43], exec
	s_and_b64 s[42:43], s[44:45], exec
	s_or_b64 s[42:43], s[10:11], s[42:43]
.LBB14_15:                              ;   in Loop: Header=BB14_16 Depth=1
	s_or_b64 exec, exec, s[46:47]
	v_add_u32_e32 v10, 1, v10
	v_cmp_ge_i32_e32 vcc, v10, v6
	s_xor_b64 s[8:9], s[8:9], -1
	s_or_b64 s[8:9], s[8:9], vcc
	s_and_b64 s[8:9], exec, s[8:9]
	s_or_b64 s[12:13], s[8:9], s[12:13]
	s_andn2_b64 s[8:9], s[40:41], exec
	s_and_b64 s[10:11], s[42:43], exec
	v_add_u32_e32 v7, s65, v7
	s_or_b64 s[40:41], s[8:9], s[10:11]
	s_mov_b64 s[44:45], s[42:43]
	s_andn2_b64 exec, exec, s[12:13]
	s_cbranch_execz .LBB14_85
.LBB14_16:                              ; =>This Loop Header: Depth=1
                                        ;     Child Loop BB14_20 Depth 2
                                        ;       Child Loop BB14_21 Depth 3
                                        ;     Child Loop BB14_26 Depth 2
                                        ;       Child Loop BB14_31 Depth 3
                                        ;         Child Loop BB14_41 Depth 4
                                        ;     Child Loop BB14_59 Depth 2
                                        ;       Child Loop BB14_64 Depth 3
                                        ;       Child Loop BB14_71 Depth 3
                                        ;         Child Loop BB14_74 Depth 4
                                        ;           Child Loop BB14_76 Depth 5
	v_ashrrev_i32_e32 v11, 31, v10
	v_lshlrev_b64 v[16:17], 2, v[10:11]
	v_add_co_u32_e32 v16, vcc, s14, v16
	v_addc_co_u32_e32 v17, vcc, v3, v17, vcc
	global_load_dword v11, v[16:17], off
	s_or_b64 s[42:43], s[42:43], exec
	s_waitcnt vmcnt(0)
	v_subrev_u32_e32 v16, s28, v11
	v_ashrrev_i32_e32 v17, 31, v16
	v_lshlrev_b64 v[16:17], 2, v[16:17]
	s_waitcnt lgkmcnt(0)
	v_add_co_u32_e32 v18, vcc, s18, v16
	v_addc_co_u32_e32 v19, vcc, v13, v17, vcc
	global_load_dword v25, v[18:19], off
	s_waitcnt vmcnt(0)
	v_cmp_ne_u32_e64 s[8:9], -1, v25
	s_and_saveexec_b64 s[46:47], s[8:9]
	s_cbranch_execz .LBB14_15
; %bb.17:                               ;   in Loop: Header=BB14_16 Depth=1
	v_mov_b32_e32 v11, s62
	v_add_co_u32_e32 v18, vcc, s61, v16
	v_addc_co_u32_e32 v19, vcc, v11, v17, vcc
	v_mov_b32_e32 v11, s25
	v_add_co_u32_e32 v16, vcc, s24, v16
	v_addc_co_u32_e32 v17, vcc, v11, v17, vcc
	global_load_dword v38, v[18:19], off
	global_load_dword v11, v[16:17], off glc
	s_waitcnt vmcnt(0)
	v_cmp_eq_u32_e32 vcc, 0, v11
	s_and_saveexec_b64 s[10:11], vcc
	s_cbranch_execz .LBB14_22
; %bb.18:                               ;   in Loop: Header=BB14_16 Depth=1
	s_mov_b32 s19, 0
	s_mov_b64 s[48:49], 0
	s_branch .LBB14_20
.LBB14_19:                              ;   in Loop: Header=BB14_20 Depth=2
	global_load_dword v11, v[16:17], off glc
	s_cmpk_lt_u32 s19, 0xf43
	s_cselect_b64 s[50:51], -1, 0
	s_cmp_lg_u64 s[50:51], 0
	s_addc_u32 s19, s19, 0
	s_waitcnt vmcnt(0)
	v_cmp_ne_u32_e32 vcc, 0, v11
	s_or_b64 s[48:49], vcc, s[48:49]
	s_andn2_b64 exec, exec, s[48:49]
	s_cbranch_execz .LBB14_22
.LBB14_20:                              ;   Parent Loop BB14_16 Depth=1
                                        ; =>  This Loop Header: Depth=2
                                        ;       Child Loop BB14_21 Depth 3
	s_cmp_eq_u32 s19, 0
	s_mov_b32 s50, s19
	s_cbranch_scc1 .LBB14_19
.LBB14_21:                              ;   Parent Loop BB14_16 Depth=1
                                        ;     Parent Loop BB14_20 Depth=2
                                        ; =>    This Inner Loop Header: Depth=3
	s_add_i32 s50, s50, -1
	s_cmp_eq_u32 s50, 0
	s_sleep 1
	s_cbranch_scc0 .LBB14_21
	s_branch .LBB14_19
.LBB14_22:                              ;   in Loop: Header=BB14_16 Depth=1
	s_or_b64 exec, exec, s[10:11]
	s_andn2_b64 vcc, exec, s[36:37]
	v_mul_lo_u32 v11, v10, s29
	buffer_wbinvl1_vol
	s_cbranch_vccnz .LBB14_55
; %bb.23:                               ;   in Loop: Header=BB14_16 Depth=1
	v_mul_lo_u32 v17, v25, s29
	s_mov_b64 s[48:49], 0
	v_mov_b32_e32 v16, 0
	s_branch .LBB14_26
.LBB14_24:                              ;   in Loop: Header=BB14_26 Depth=2
	s_or_b64 exec, exec, s[52:53]
	v_mov_b32_e32 v16, v39
.LBB14_25:                              ;   in Loop: Header=BB14_26 Depth=2
	s_or_b64 exec, exec, s[50:51]
	v_cmp_eq_u32_e32 vcc, s29, v16
	s_or_b64 s[48:49], vcc, s[48:49]
	s_andn2_b64 exec, exec, s[48:49]
	s_cbranch_execz .LBB14_54
.LBB14_26:                              ;   Parent Loop BB14_16 Depth=1
                                        ; =>  This Loop Header: Depth=2
                                        ;       Child Loop BB14_31 Depth 3
                                        ;         Child Loop BB14_41 Depth 4
	v_add_u32_e32 v39, 1, v16
	s_and_saveexec_b64 s[10:11], s[4:5]
	s_xor_b64 s[10:11], exec, s[10:11]
; %bb.27:                               ;   in Loop: Header=BB14_26 Depth=2
	v_add_u32_e32 v16, 1, v16
                                        ; implicit-def: $vgpr39
; %bb.28:                               ;   in Loop: Header=BB14_26 Depth=2
	s_andn2_saveexec_b64 s[50:51], s[10:11]
	s_cbranch_execz .LBB14_25
; %bb.29:                               ;   in Loop: Header=BB14_26 Depth=2
	v_add_u32_e32 v18, v16, v17
	v_mul_lo_u32 v40, v18, s29
	v_add_u32_e32 v18, v40, v16
	v_ashrrev_i32_e32 v19, 31, v18
	v_lshlrev_b64 v[18:19], 3, v[18:19]
	v_mov_b32_e32 v20, s17
	v_add_co_u32_e32 v18, vcc, s16, v18
	v_addc_co_u32_e32 v19, vcc, v20, v19, vcc
	global_load_dwordx2 v[18:19], v[18:19], off
	v_add_u32_e32 v20, v16, v11
	v_cmp_gt_i32_e64 s[10:11], s29, v39
	s_mov_b64 s[52:53], 0
	v_mov_b32_e32 v41, v7
	v_mul_lo_u32 v42, v20, s29
	s_waitcnt vmcnt(0)
	v_mul_f32_e32 v22, v19, v19
	v_fmac_f32_e32 v22, v18, v18
	v_div_scale_f32 v23, s[54:55], v22, v22, 1.0
	v_rcp_f32_e32 v24, v23
	v_div_scale_f32 v26, vcc, 1.0, v22, 1.0
	v_mov_b32_e32 v20, v18
	v_fma_f32 v27, -v23, v24, 1.0
	v_fmac_f32_e32 v24, v27, v24
	v_mul_f32_e32 v27, v26, v24
	v_fma_f32 v28, -v23, v27, v26
	v_fmac_f32_e32 v27, v28, v24
	v_fma_f32 v23, -v23, v27, v26
	v_div_fmas_f32 v23, v23, v24, v27
	v_div_fixup_f32 v22, v23, v22, 1.0
	v_mov_b32_e32 v21, v18
	v_mov_b32_e32 v18, v19
	;; [unrolled: 1-line block ×4, first 2 shown]
	s_branch .LBB14_31
.LBB14_30:                              ;   in Loop: Header=BB14_31 Depth=3
	s_or_b64 exec, exec, s[54:55]
	v_add_u32_e32 v24, 64, v24
	v_cmp_le_i32_e32 vcc, s29, v24
	s_or_b64 s[52:53], vcc, s[52:53]
	v_add_u32_e32 v41, s66, v41
	s_andn2_b64 exec, exec, s[52:53]
	s_cbranch_execz .LBB14_24
.LBB14_31:                              ;   Parent Loop BB14_16 Depth=1
                                        ;     Parent Loop BB14_26 Depth=2
                                        ; =>    This Loop Header: Depth=3
                                        ;         Child Loop BB14_41 Depth 4
	s_and_b64 vcc, exec, s[38:39]
	v_add_u32_e32 v28, v24, v42
	s_cbranch_vccz .LBB14_52
; %bb.32:                               ;   in Loop: Header=BB14_31 Depth=3
	v_add_u32_e32 v26, v24, v42
	v_add_u32_e32 v29, v24, v11
	s_cbranch_execnz .LBB14_34
.LBB14_33:                              ;   in Loop: Header=BB14_31 Depth=3
	v_mad_u64_u32 v[26:27], s[54:55], v29, s29, v[16:17]
.LBB14_34:                              ;   in Loop: Header=BB14_31 Depth=3
	v_ashrrev_i32_e32 v27, 31, v26
	v_lshlrev_b64 v[26:27], 3, v[26:27]
	v_mov_b32_e32 v30, s17
	v_add_co_u32_e32 v26, vcc, s16, v26
	v_addc_co_u32_e32 v27, vcc, v30, v27, vcc
	global_load_dwordx2 v[26:27], v[26:27], off
	s_and_b64 vcc, exec, s[38:39]
	s_cbranch_vccz .LBB14_53
; %bb.35:                               ;   in Loop: Header=BB14_31 Depth=3
	s_cbranch_execnz .LBB14_37
.LBB14_36:                              ;   in Loop: Header=BB14_31 Depth=3
	v_mad_u64_u32 v[28:29], s[54:55], v29, s29, v[16:17]
.LBB14_37:                              ;   in Loop: Header=BB14_31 Depth=3
	v_ashrrev_i32_e32 v29, 31, v28
	s_waitcnt vmcnt(0)
	v_pk_mul_f32 v[30:31], v[18:19], v[26:27] op_sel:[0,1] op_sel_hi:[1,0] neg_hi:[0,1]
	v_lshlrev_b64 v[28:29], 3, v[28:29]
	v_pk_fma_f32 v[26:27], v[26:27], v[20:21], v[30:31]
	v_mov_b32_e32 v30, s17
	v_add_co_u32_e32 v28, vcc, s16, v28
	v_pk_mul_f32 v[26:27], v[22:23], v[26:27]
	v_addc_co_u32_e32 v29, vcc, v30, v29, vcc
	global_store_dwordx2 v[28:29], v[26:27], off
	s_and_saveexec_b64 s[54:55], s[10:11]
	s_cbranch_execz .LBB14_30
; %bb.38:                               ;   in Loop: Header=BB14_31 Depth=3
	v_xor_b32_e32 v29, 0x80000000, v26
	v_mov_b32_e32 v28, v27
	s_mov_b64 s[56:57], 0
	v_mov_b32_e32 v43, v39
	s_branch .LBB14_41
.LBB14_39:                              ;   in Loop: Header=BB14_41 Depth=4
	v_mov_b32_e32 v34, v44
.LBB14_40:                              ;   in Loop: Header=BB14_41 Depth=4
	s_waitcnt vmcnt(0)
	v_pk_fma_f32 v[32:33], v[26:27], v[30:31], v[32:33] op_sel_hi:[1,0,1] neg_lo:[1,0,0] neg_hi:[1,0,0]
	v_ashrrev_i32_e32 v35, 31, v34
	v_pk_fma_f32 v[30:31], v[28:29], v[30:31], v[32:33] op_sel:[0,1,0]
	v_lshlrev_b64 v[32:33], 3, v[34:35]
	v_mov_b32_e32 v34, s17
	v_add_co_u32_e32 v32, vcc, s16, v32
	v_addc_co_u32_e32 v33, vcc, v34, v33, vcc
	v_add_u32_e32 v43, 1, v43
	v_cmp_le_i32_e32 vcc, s29, v43
	s_or_b64 s[56:57], vcc, s[56:57]
	global_store_dwordx2 v[32:33], v[30:31], off
	s_andn2_b64 exec, exec, s[56:57]
	s_cbranch_execz .LBB14_30
.LBB14_41:                              ;   Parent Loop BB14_16 Depth=1
                                        ;     Parent Loop BB14_26 Depth=2
                                        ;       Parent Loop BB14_31 Depth=3
                                        ; =>      This Inner Loop Header: Depth=4
	s_and_b64 vcc, exec, s[38:39]
	s_cbranch_vccz .LBB14_49
; %bb.42:                               ;   in Loop: Header=BB14_41 Depth=4
	v_add_u32_e32 v30, v43, v17
	v_mad_u64_u32 v[30:31], s[58:59], v30, s29, v[16:17]
	s_cbranch_execnz .LBB14_44
.LBB14_43:                              ;   in Loop: Header=BB14_41 Depth=4
	v_add_u32_e32 v30, v40, v43
.LBB14_44:                              ;   in Loop: Header=BB14_41 Depth=4
	v_ashrrev_i32_e32 v31, 31, v30
	v_lshlrev_b64 v[30:31], 3, v[30:31]
	v_mov_b32_e32 v32, s17
	v_add_co_u32_e32 v30, vcc, s16, v30
	v_addc_co_u32_e32 v31, vcc, v32, v31, vcc
	global_load_dwordx2 v[30:31], v[30:31], off
	s_and_b64 vcc, exec, s[38:39]
	v_add_u32_e32 v34, v43, v11
	s_cbranch_vccz .LBB14_50
; %bb.45:                               ;   in Loop: Header=BB14_41 Depth=4
	v_mad_u64_u32 v[32:33], s[58:59], v34, s29, v[24:25]
	v_add_u32_e32 v44, v41, v43
	s_cbranch_execnz .LBB14_47
.LBB14_46:                              ;   in Loop: Header=BB14_41 Depth=4
	v_add_u32_e32 v32, v41, v43
.LBB14_47:                              ;   in Loop: Header=BB14_41 Depth=4
	v_ashrrev_i32_e32 v33, 31, v32
	v_lshlrev_b64 v[32:33], 3, v[32:33]
	v_mov_b32_e32 v35, s17
	v_add_co_u32_e32 v32, vcc, s16, v32
	v_addc_co_u32_e32 v33, vcc, v35, v33, vcc
	global_load_dwordx2 v[32:33], v[32:33], off
	s_and_b64 vcc, exec, s[38:39]
	s_cbranch_vccz .LBB14_51
; %bb.48:                               ;   in Loop: Header=BB14_41 Depth=4
	v_mad_u64_u32 v[34:35], s[58:59], v34, s29, v[24:25]
	s_cbranch_execnz .LBB14_40
	s_branch .LBB14_39
.LBB14_49:                              ;   in Loop: Header=BB14_41 Depth=4
                                        ; implicit-def: $vgpr30
	s_branch .LBB14_43
.LBB14_50:                              ;   in Loop: Header=BB14_41 Depth=4
                                        ; implicit-def: $vgpr32
	v_add_u32_e32 v44, v41, v43
	s_branch .LBB14_46
.LBB14_51:                              ;   in Loop: Header=BB14_41 Depth=4
                                        ; implicit-def: $vgpr34
	s_branch .LBB14_39
.LBB14_52:                              ;   in Loop: Header=BB14_31 Depth=3
                                        ; implicit-def: $vgpr26
	v_add_u32_e32 v29, v24, v11
	s_branch .LBB14_33
.LBB14_53:                              ;   in Loop: Header=BB14_31 Depth=3
                                        ; implicit-def: $vgpr28
	s_branch .LBB14_36
.LBB14_54:                              ;   in Loop: Header=BB14_16 Depth=1
	s_or_b64 exec, exec, s[48:49]
.LBB14_55:                              ;   in Loop: Header=BB14_16 Depth=1
	v_subrev_u32_e32 v26, s28, v38
	v_add_u32_e32 v16, 1, v25
	v_cmp_lt_i32_e32 vcc, v16, v26
	s_and_saveexec_b64 s[10:11], vcc
	s_cbranch_execz .LBB14_14
; %bb.56:                               ;   in Loop: Header=BB14_16 Depth=1
	v_mul_lo_u32 v27, s65, v16
	s_mov_b64 s[48:49], 0
	s_branch .LBB14_59
.LBB14_57:                              ;   in Loop: Header=BB14_59 Depth=2
	s_or_b64 exec, exec, s[50:51]
.LBB14_58:                              ;   in Loop: Header=BB14_59 Depth=2
	v_add_u32_e32 v16, 1, v16
	v_cmp_ge_i32_e32 vcc, v16, v26
	s_or_b64 s[48:49], vcc, s[48:49]
	v_add_u32_e32 v27, s65, v27
	s_andn2_b64 exec, exec, s[48:49]
	s_cbranch_execz .LBB14_14
.LBB14_59:                              ;   Parent Loop BB14_16 Depth=1
                                        ; =>  This Loop Header: Depth=2
                                        ;       Child Loop BB14_64 Depth 3
                                        ;       Child Loop BB14_71 Depth 3
                                        ;         Child Loop BB14_74 Depth 4
                                        ;           Child Loop BB14_76 Depth 5
	v_ashrrev_i32_e32 v17, 31, v16
	s_waitcnt lgkmcnt(0)
	v_lshlrev_b64 v[18:19], 2, v[16:17]
	v_mov_b32_e32 v17, s15
	v_add_co_u32_e32 v18, vcc, s14, v18
	v_addc_co_u32_e32 v19, vcc, v17, v19, vcc
	global_load_dword v17, v[18:19], off
	v_mov_b32_e32 v19, s31
	s_and_saveexec_b64 s[50:51], s[6:7]
	s_cbranch_execz .LBB14_61
; %bb.60:                               ;   in Loop: Header=BB14_59 Depth=2
	global_load_dword v18, v[14:15], off
	s_waitcnt vmcnt(0)
	v_subrev_u32_e32 v19, s28, v18
.LBB14_61:                              ;   in Loop: Header=BB14_59 Depth=2
	s_or_b64 exec, exec, s[50:51]
	s_waitcnt vmcnt(0)
	v_subrev_u32_e32 v17, s28, v17
	v_cmp_lt_i32_e32 vcc, v19, v17
	v_mov_b32_e32 v20, v12
	s_and_saveexec_b64 s[50:51], vcc
	s_cbranch_execz .LBB14_67
; %bb.62:                               ;   in Loop: Header=BB14_59 Depth=2
	s_mov_b64 s[52:53], 0
	v_mov_b32_e32 v18, v12
	s_branch .LBB14_64
.LBB14_63:                              ;   in Loop: Header=BB14_64 Depth=3
	s_or_b64 exec, exec, s[54:55]
	v_cmp_ge_i32_e32 vcc, v19, v17
	s_or_b64 s[52:53], vcc, s[52:53]
	v_mov_b32_e32 v18, v20
	s_andn2_b64 exec, exec, s[52:53]
	s_cbranch_execz .LBB14_66
.LBB14_64:                              ;   Parent Loop BB14_16 Depth=1
                                        ;     Parent Loop BB14_59 Depth=2
                                        ; =>    This Inner Loop Header: Depth=3
	v_add_u32_e32 v20, 64, v18
	v_cmp_lt_i32_e32 vcc, v20, v1
	v_mov_b32_e32 v19, s31
	s_and_saveexec_b64 s[54:55], vcc
	s_cbranch_execz .LBB14_63
; %bb.65:                               ;   in Loop: Header=BB14_64 Depth=3
	v_ashrrev_i32_e32 v19, 31, v18
	v_lshlrev_b64 v[18:19], 2, v[18:19]
	v_mov_b32_e32 v21, s64
	v_add_co_u32_e32 v18, vcc, s63, v18
	v_addc_co_u32_e32 v19, vcc, v21, v19, vcc
	global_load_dword v18, v[18:19], off
	s_waitcnt vmcnt(0)
	v_subrev_u32_e32 v19, s28, v18
	s_branch .LBB14_63
.LBB14_66:                              ;   in Loop: Header=BB14_59 Depth=2
	s_or_b64 exec, exec, s[52:53]
.LBB14_67:                              ;   in Loop: Header=BB14_59 Depth=2
	s_or_b64 exec, exec, s[50:51]
	v_cmp_eq_u32_e32 vcc, v19, v17
	s_cbranch_vccz .LBB14_58
; %bb.68:                               ;   in Loop: Header=BB14_59 Depth=2
	s_ff1_i32_b64 s19, vcc
	v_and_or_b32 v17, v37, 64, s19
	v_lshlrev_b32_e32 v17, 2, v17
	ds_bpermute_b32 v18, v17, v20
	s_and_saveexec_b64 s[50:51], s[2:3]
	s_cbranch_execz .LBB14_57
; %bb.69:                               ;   in Loop: Header=BB14_59 Depth=2
	v_mul_lo_u32 v17, v16, s29
	s_waitcnt lgkmcnt(0)
	v_mul_lo_u32 v19, v18, s29
	s_mov_b64 s[52:53], 0
	v_mov_b32_e32 v28, v7
	v_mov_b32_e32 v18, v0
	s_branch .LBB14_71
.LBB14_70:                              ;   in Loop: Header=BB14_71 Depth=3
	v_add_u32_e32 v18, 64, v18
	v_cmp_le_i32_e32 vcc, s29, v18
	s_or_b64 s[52:53], vcc, s[52:53]
	v_add_u32_e32 v28, s66, v28
	s_andn2_b64 exec, exec, s[52:53]
	s_cbranch_execz .LBB14_57
.LBB14_71:                              ;   Parent Loop BB14_16 Depth=1
                                        ;     Parent Loop BB14_59 Depth=2
                                        ; =>    This Loop Header: Depth=3
                                        ;         Child Loop BB14_74 Depth 4
                                        ;           Child Loop BB14_76 Depth 5
	v_add_u32_e32 v20, v18, v19
	v_mul_lo_u32 v29, v20, s29
	s_mov_b32 s19, 0
	v_mov_b32_e32 v30, v27
	s_branch .LBB14_74
.LBB14_72:                              ;   in Loop: Header=BB14_74 Depth=4
	v_add_u32_e32 v22, s19, v29
.LBB14_73:                              ;   in Loop: Header=BB14_74 Depth=4
	v_ashrrev_i32_e32 v23, 31, v22
	v_lshlrev_b64 v[22:23], 3, v[22:23]
	v_mov_b32_e32 v24, s17
	v_add_co_u32_e32 v22, vcc, s16, v22
	v_addc_co_u32_e32 v23, vcc, v24, v23, vcc
	global_load_dwordx2 v[24:25], v[22:23], off
	s_add_i32 s19, s19, 1
	s_cmp_eq_u32 s19, s29
	v_add_u32_e32 v30, 1, v30
	s_waitcnt vmcnt(0)
	v_pk_add_f32 v[20:21], v[24:25], v[20:21] neg_lo:[0,1] neg_hi:[0,1]
	global_store_dwordx2 v[22:23], v[20:21], off
	s_cbranch_scc1 .LBB14_70
.LBB14_74:                              ;   Parent Loop BB14_16 Depth=1
                                        ;     Parent Loop BB14_59 Depth=2
                                        ;       Parent Loop BB14_71 Depth=3
                                        ; =>      This Loop Header: Depth=4
                                        ;           Child Loop BB14_76 Depth 5
	v_add_u32_e32 v20, s19, v17
	v_mul_lo_u32 v31, v20, s29
	v_mov_b32_e32 v20, 0
	v_mov_b32_e32 v32, v30
	s_mov_b32 s56, 0
	v_mov_b32_e32 v21, v20
	s_branch .LBB14_76
.LBB14_75:                              ;   in Loop: Header=BB14_76 Depth=5
	v_ashrrev_i32_e32 v25, 31, v24
	v_lshlrev_b64 v[24:25], 3, v[24:25]
	v_mov_b32_e32 v33, s17
	v_add_co_u32_e32 v24, vcc, s16, v24
	v_addc_co_u32_e32 v25, vcc, v33, v25, vcc
	global_load_dwordx2 v[24:25], v[24:25], off
	s_add_i32 s56, s56, 1
	s_cmp_eq_u32 s29, s56
	v_add_u32_e32 v32, s29, v32
	s_waitcnt vmcnt(0)
	v_pk_fma_f32 v[20:21], v[22:23], v[24:25], v[20:21] op_sel_hi:[1,0,1]
	v_pk_fma_f32 v[20:21], v[22:23], v[24:25], v[20:21] op_sel:[1,1,0] op_sel_hi:[0,1,1] neg_lo:[1,0,0]
	s_cbranch_scc1 .LBB14_82
.LBB14_76:                              ;   Parent Loop BB14_16 Depth=1
                                        ;     Parent Loop BB14_59 Depth=2
                                        ;       Parent Loop BB14_71 Depth=3
                                        ;         Parent Loop BB14_74 Depth=4
                                        ; =>        This Inner Loop Header: Depth=5
	s_and_b64 vcc, exec, s[38:39]
	s_cbranch_vccz .LBB14_81
; %bb.77:                               ;   in Loop: Header=BB14_76 Depth=5
	v_add_u32_e32 v22, s56, v11
	v_mad_u64_u32 v[22:23], s[54:55], v22, s29, v[18:19]
	s_cbranch_execnz .LBB14_79
.LBB14_78:                              ;   in Loop: Header=BB14_76 Depth=5
	v_add_u32_e32 v22, s56, v28
.LBB14_79:                              ;   in Loop: Header=BB14_76 Depth=5
	v_ashrrev_i32_e32 v23, 31, v22
	v_lshlrev_b64 v[22:23], 3, v[22:23]
	v_mov_b32_e32 v24, s17
	v_add_co_u32_e32 v22, vcc, s16, v22
	v_addc_co_u32_e32 v23, vcc, v24, v23, vcc
	global_load_dwordx2 v[22:23], v[22:23], off
	s_andn2_b64 vcc, exec, s[38:39]
	v_mov_b32_e32 v24, v32
	s_cbranch_vccnz .LBB14_75
; %bb.80:                               ;   in Loop: Header=BB14_76 Depth=5
	v_add_u32_e32 v24, s56, v31
	s_branch .LBB14_75
.LBB14_81:                              ;   in Loop: Header=BB14_76 Depth=5
                                        ; implicit-def: $vgpr22
	s_branch .LBB14_78
.LBB14_82:                              ;   in Loop: Header=BB14_74 Depth=4
	s_and_b64 vcc, exec, s[38:39]
	s_cbranch_vccz .LBB14_84
; %bb.83:                               ;   in Loop: Header=BB14_74 Depth=4
	v_add_u32_e32 v22, s19, v19
	v_mad_u64_u32 v[22:23], s[54:55], v22, s29, v[18:19]
	s_cbranch_execnz .LBB14_73
	s_branch .LBB14_72
.LBB14_84:                              ;   in Loop: Header=BB14_74 Depth=4
                                        ; implicit-def: $vgpr22
	s_branch .LBB14_72
.LBB14_85:
	s_or_b64 exec, exec, s[12:13]
	s_and_b64 s[6:7], s[40:41], exec
.LBB14_86:
	s_or_b64 exec, exec, s[34:35]
	v_ashrrev_i32_e32 v7, 31, v6
	v_lshlrev_b64 v[10:11], 2, v[6:7]
	v_mov_b32_e32 v3, s15
	v_add_co_u32_e32 v10, vcc, s14, v10
	v_addc_co_u32_e32 v11, vcc, v3, v11, vcc
	global_load_dword v3, v[10:11], off
	s_waitcnt lgkmcnt(0)
	s_cmp_gt_i32 s29, 0
	s_cselect_b64 s[8:9], -1, 0
	s_waitcnt vmcnt(0)
	v_subrev_u32_e32 v3, s28, v3
	v_cmp_eq_u32_e32 vcc, v3, v2
	s_and_b64 s[2:3], s[8:9], vcc
	s_and_saveexec_b64 s[10:11], s[2:3]
	s_cbranch_execz .LBB14_132
; %bb.87:
	s_cmp_eq_u64 s[20:21], 8
	v_cvt_f64_f32_e32 v[10:11], v36
	s_cselect_b64 vcc, -1, 0
	s_cmp_lg_u32 s30, 0
	v_mul_lo_u32 v3, v6, s29
	v_cndmask_b32_e32 v9, v11, v9, vcc
	v_cndmask_b32_e32 v8, v10, v8, vcc
	s_cselect_b64 s[12:13], -1, 0
	v_cmp_eq_u32_e64 s[2:3], 0, v0
	v_add3_u32 v7, v3, v0, 1
	s_lshl_b32 s31, s29, 6
	s_mov_b64 s[14:15], 0
	v_mov_b32_e32 v10, 0
	v_mov_b32_e32 v11, s17
	s_mov_b32 s48, 0xf800000
	v_mov_b32_e32 v30, 0x260
	s_mov_b64 s[20:21], s[6:7]
                                        ; implicit-def: $sgpr18_sgpr19
	s_branch .LBB14_89
.LBB14_88:                              ;   in Loop: Header=BB14_89 Depth=1
	s_or_b64 exec, exec, s[4:5]
	v_cmp_eq_u32_e32 vcc, s29, v15
	s_or_b64 s[14:15], vcc, s[14:15]
	s_andn2_b64 s[4:5], s[18:19], exec
	s_and_b64 s[18:19], s[20:21], exec
	s_or_b64 s[18:19], s[4:5], s[18:19]
	v_mov_b32_e32 v10, v15
	s_andn2_b64 exec, exec, s[14:15]
	s_cbranch_execz .LBB14_131
.LBB14_89:                              ; =>This Loop Header: Depth=1
                                        ;     Child Loop BB14_105 Depth 2
                                        ;       Child Loop BB14_115 Depth 3
	v_add_u32_e32 v12, v10, v3
	v_mul_lo_u32 v31, v12, s29
	v_add_u32_e32 v12, v31, v10
	v_ashrrev_i32_e32 v13, 31, v12
	v_lshlrev_b64 v[12:13], 3, v[12:13]
	v_add_co_u32_e32 v14, vcc, s16, v12
	v_addc_co_u32_e32 v15, vcc, v11, v13, vcc
	global_load_dwordx2 v[12:13], v[14:15], off
	s_and_b64 vcc, exec, s[0:1]
	s_cbranch_vccnz .LBB14_100
; %bb.90:                               ;   in Loop: Header=BB14_89 Depth=1
	s_waitcnt vmcnt(0)
	v_cmp_gt_f32_e32 vcc, 0, v12
	v_cndmask_b32_e64 v16, v12, -v12, vcc
	v_cmp_gt_f32_e32 vcc, 0, v13
	v_cndmask_b32_e64 v17, v13, -v13, vcc
	v_cmp_ngt_f32_e32 vcc, v16, v17
                                        ; implicit-def: $vgpr18
	s_and_saveexec_b64 s[4:5], vcc
	s_xor_b64 s[34:35], exec, s[4:5]
	s_cbranch_execz .LBB14_94
; %bb.91:                               ;   in Loop: Header=BB14_89 Depth=1
	v_cmp_neq_f32_e32 vcc, 0, v13
	v_mov_b32_e32 v18, 0
	s_and_saveexec_b64 s[36:37], vcc
	s_cbranch_execz .LBB14_93
; %bb.92:                               ;   in Loop: Header=BB14_89 Depth=1
	v_div_scale_f32 v18, s[4:5], v17, v17, v16
	v_rcp_f32_e32 v19, v18
	v_div_scale_f32 v20, vcc, v16, v17, v16
	v_fma_f32 v21, -v18, v19, 1.0
	v_fmac_f32_e32 v19, v21, v19
	v_mul_f32_e32 v21, v20, v19
	v_fma_f32 v22, -v18, v21, v20
	v_fmac_f32_e32 v21, v22, v19
	v_fma_f32 v18, -v18, v21, v20
	v_div_fmas_f32 v18, v18, v19, v21
	v_div_fixup_f32 v16, v18, v17, v16
	v_fma_f32 v16, v16, v16, 1.0
	v_mul_f32_e32 v18, 0x4f800000, v16
	v_cmp_gt_f32_e32 vcc, s48, v16
	v_cndmask_b32_e32 v16, v16, v18, vcc
	v_sqrt_f32_e32 v18, v16
	v_add_u32_e32 v19, -1, v18
	v_fma_f32 v20, -v19, v18, v16
	v_cmp_ge_f32_e64 s[4:5], 0, v20
	v_add_u32_e32 v20, 1, v18
	v_cndmask_b32_e64 v19, v18, v19, s[4:5]
	v_fma_f32 v18, -v20, v18, v16
	v_cmp_lt_f32_e64 s[4:5], 0, v18
	v_cndmask_b32_e64 v18, v19, v20, s[4:5]
	v_mul_f32_e32 v19, 0x37800000, v18
	v_cndmask_b32_e32 v18, v18, v19, vcc
	v_cmp_class_f32_e32 vcc, v16, v30
	v_cndmask_b32_e32 v16, v18, v16, vcc
	v_mul_f32_e32 v18, v17, v16
.LBB14_93:                              ;   in Loop: Header=BB14_89 Depth=1
	s_or_b64 exec, exec, s[36:37]
                                        ; implicit-def: $vgpr16
                                        ; implicit-def: $vgpr17
.LBB14_94:                              ;   in Loop: Header=BB14_89 Depth=1
	s_andn2_saveexec_b64 s[34:35], s[34:35]
	s_cbranch_execz .LBB14_96
; %bb.95:                               ;   in Loop: Header=BB14_89 Depth=1
	v_div_scale_f32 v18, s[4:5], v16, v16, v17
	v_rcp_f32_e32 v19, v18
	v_div_scale_f32 v20, vcc, v17, v16, v17
	v_fma_f32 v21, -v18, v19, 1.0
	v_fmac_f32_e32 v19, v21, v19
	v_mul_f32_e32 v21, v20, v19
	v_fma_f32 v22, -v18, v21, v20
	v_fmac_f32_e32 v21, v22, v19
	v_fma_f32 v18, -v18, v21, v20
	v_div_fmas_f32 v18, v18, v19, v21
	v_div_fixup_f32 v17, v18, v16, v17
	v_fma_f32 v17, v17, v17, 1.0
	v_mul_f32_e32 v18, 0x4f800000, v17
	v_cmp_gt_f32_e32 vcc, s48, v17
	v_cndmask_b32_e32 v17, v17, v18, vcc
	v_sqrt_f32_e32 v18, v17
	v_add_u32_e32 v19, -1, v18
	v_fma_f32 v20, -v19, v18, v17
	v_cmp_ge_f32_e64 s[4:5], 0, v20
	v_add_u32_e32 v20, 1, v18
	v_cndmask_b32_e64 v19, v18, v19, s[4:5]
	v_fma_f32 v18, -v20, v18, v17
	v_cmp_lt_f32_e64 s[4:5], 0, v18
	v_cndmask_b32_e64 v18, v19, v20, s[4:5]
	v_mul_f32_e32 v19, 0x37800000, v18
	v_cndmask_b32_e32 v18, v18, v19, vcc
	v_cmp_class_f32_e32 vcc, v17, v30
	v_cndmask_b32_e32 v17, v18, v17, vcc
	v_mul_f32_e32 v18, v16, v17
.LBB14_96:                              ;   in Loop: Header=BB14_89 Depth=1
	s_or_b64 exec, exec, s[34:35]
	v_cvt_f64_f32_e32 v[16:17], v18
	v_mov_b32_e32 v18, s60
	v_cmp_ge_f64_e32 vcc, v[8:9], v[16:17]
	v_mov_b32_e32 v16, s33
	v_cndmask_b32_e32 v17, v13, v18, vcc
	v_cndmask_b32_e32 v16, v12, v16, vcc
	s_and_saveexec_b64 s[4:5], s[2:3]
	s_cbranch_execz .LBB14_98
; %bb.97:                               ;   in Loop: Header=BB14_89 Depth=1
	global_store_dwordx2 v[14:15], v[16:17], off
.LBB14_98:                              ;   in Loop: Header=BB14_89 Depth=1
	s_or_b64 exec, exec, s[4:5]
	s_mov_b64 s[36:37], -1
	s_mov_b64 s[34:35], 0
.LBB14_99:                              ;   in Loop: Header=BB14_89 Depth=1
	s_waitcnt vmcnt(0)
	v_pk_mov_b32 v[12:13], v[16:17], v[16:17] op_sel:[0,1]
                                        ; implicit-def: $sgpr4_sgpr5
                                        ; implicit-def: $vgpr15
	s_and_saveexec_b64 s[38:39], s[36:37]
	s_xor_b64 s[36:37], exec, s[38:39]
	s_cbranch_execz .LBB14_129
	s_branch .LBB14_102
.LBB14_100:                             ;   in Loop: Header=BB14_89 Depth=1
	s_mov_b64 s[36:37], 0
                                        ; implicit-def: $vgpr16_vgpr17
	s_mov_b64 s[34:35], 0
	s_cbranch_execz .LBB14_99
; %bb.101:                              ;   in Loop: Header=BB14_89 Depth=1
	s_waitcnt vmcnt(0)
	v_cmp_neq_f32_e32 vcc, 0, v12
	v_cmp_neq_f32_e64 s[4:5], 0, v13
	s_or_b64 s[4:5], vcc, s[4:5]
	s_andn2_b64 s[36:37], s[36:37], exec
	s_and_b64 s[4:5], s[4:5], exec
	s_mov_b64 s[34:35], -1
	s_or_b64 s[36:37], s[36:37], s[4:5]
                                        ; implicit-def: $sgpr4_sgpr5
                                        ; implicit-def: $vgpr15
	s_and_saveexec_b64 s[38:39], s[36:37]
	s_xor_b64 s[36:37], exec, s[38:39]
	s_cbranch_execz .LBB14_129
.LBB14_102:                             ;   in Loop: Header=BB14_89 Depth=1
	v_add_u32_e32 v15, 1, v10
	v_add_u32_e32 v14, v15, v0
	v_cmp_gt_i32_e32 vcc, s29, v14
	s_and_saveexec_b64 s[38:39], vcc
	s_cbranch_execz .LBB14_128
; %bb.103:                              ;   in Loop: Header=BB14_89 Depth=1
	v_mul_f32_e32 v16, v13, v13
	v_fmac_f32_e32 v16, v12, v12
	v_div_scale_f32 v17, s[4:5], v16, v16, 1.0
	v_rcp_f32_e32 v18, v17
	v_div_scale_f32 v19, vcc, 1.0, v16, 1.0
	v_cmp_gt_i32_e64 s[4:5], s29, v15
	v_fma_f32 v20, -v17, v18, 1.0
	v_fmac_f32_e32 v18, v20, v18
	v_mul_f32_e32 v20, v19, v18
	v_fma_f32 v21, -v17, v20, v19
	v_fmac_f32_e32 v20, v21, v18
	v_fma_f32 v17, -v17, v20, v19
	v_div_fmas_f32 v17, v17, v18, v20
	v_div_fixup_f32 v16, v17, v16, 1.0
	v_add_u32_e32 v20, v7, v10
	v_mov_b32_e32 v17, v16
	v_mov_b32_e32 v18, v12
	;; [unrolled: 1-line block ×4, first 2 shown]
	v_mul_lo_u32 v32, s29, v20
	s_mov_b64 s[40:41], 0
	s_branch .LBB14_105
.LBB14_104:                             ;   in Loop: Header=BB14_105 Depth=2
	s_or_b64 exec, exec, s[42:43]
	v_add_u32_e32 v14, 64, v14
	v_cmp_le_i32_e32 vcc, s29, v14
	s_or_b64 s[40:41], vcc, s[40:41]
	v_add_u32_e32 v32, s31, v32
	s_andn2_b64 exec, exec, s[40:41]
	s_cbranch_execz .LBB14_128
.LBB14_105:                             ;   Parent Loop BB14_89 Depth=1
                                        ; =>  This Loop Header: Depth=2
                                        ;       Child Loop BB14_115 Depth 3
	s_and_b64 vcc, exec, s[12:13]
	v_add_u32_e32 v22, v14, v31
	s_cbranch_vccz .LBB14_126
; %bb.106:                              ;   in Loop: Header=BB14_105 Depth=2
	v_add_u32_e32 v20, v14, v31
	s_cbranch_execnz .LBB14_108
.LBB14_107:                             ;   in Loop: Header=BB14_105 Depth=2
	v_add_u32_e32 v20, v14, v3
	v_mad_u64_u32 v[20:21], s[42:43], v20, s29, v[10:11]
.LBB14_108:                             ;   in Loop: Header=BB14_105 Depth=2
	v_ashrrev_i32_e32 v21, 31, v20
	v_lshlrev_b64 v[20:21], 3, v[20:21]
	v_mov_b32_e32 v23, s17
	v_add_co_u32_e32 v20, vcc, s16, v20
	v_addc_co_u32_e32 v21, vcc, v23, v21, vcc
	global_load_dwordx2 v[20:21], v[20:21], off
	s_and_b64 vcc, exec, s[12:13]
	s_cbranch_vccz .LBB14_127
; %bb.109:                              ;   in Loop: Header=BB14_105 Depth=2
	s_cbranch_execnz .LBB14_111
.LBB14_110:                             ;   in Loop: Header=BB14_105 Depth=2
	v_add_u32_e32 v22, v14, v3
	v_mad_u64_u32 v[22:23], s[42:43], v22, s29, v[10:11]
.LBB14_111:                             ;   in Loop: Header=BB14_105 Depth=2
	v_ashrrev_i32_e32 v23, 31, v22
	s_waitcnt vmcnt(0)
	v_pk_mul_f32 v[24:25], v[12:13], v[20:21] op_sel:[0,1] op_sel_hi:[1,0] neg_hi:[0,1]
	v_lshlrev_b64 v[22:23], 3, v[22:23]
	v_pk_fma_f32 v[20:21], v[20:21], v[18:19], v[24:25]
	v_mov_b32_e32 v24, s17
	v_add_co_u32_e32 v22, vcc, s16, v22
	v_pk_mul_f32 v[20:21], v[16:17], v[20:21]
	v_addc_co_u32_e32 v23, vcc, v24, v23, vcc
	global_store_dwordx2 v[22:23], v[20:21], off
	s_and_saveexec_b64 s[42:43], s[4:5]
	s_cbranch_execz .LBB14_104
; %bb.112:                              ;   in Loop: Header=BB14_105 Depth=2
	v_xor_b32_e32 v23, 0x80000000, v20
	v_mov_b32_e32 v22, v21
	s_mov_b64 s[44:45], 0
	v_mov_b32_e32 v33, v15
	s_branch .LBB14_115
.LBB14_113:                             ;   in Loop: Header=BB14_115 Depth=3
	v_add_u32_e32 v28, v32, v33
.LBB14_114:                             ;   in Loop: Header=BB14_115 Depth=3
	s_waitcnt vmcnt(0)
	v_pk_fma_f32 v[26:27], v[20:21], v[24:25], v[26:27] op_sel_hi:[1,0,1] neg_lo:[1,0,0] neg_hi:[1,0,0]
	v_ashrrev_i32_e32 v29, 31, v28
	v_pk_fma_f32 v[24:25], v[22:23], v[24:25], v[26:27] op_sel:[0,1,0]
	v_lshlrev_b64 v[26:27], 3, v[28:29]
	v_mov_b32_e32 v28, s17
	v_add_co_u32_e32 v26, vcc, s16, v26
	v_addc_co_u32_e32 v27, vcc, v28, v27, vcc
	v_add_u32_e32 v33, 1, v33
	v_cmp_le_i32_e32 vcc, s29, v33
	s_or_b64 s[44:45], vcc, s[44:45]
	global_store_dwordx2 v[26:27], v[24:25], off
	s_andn2_b64 exec, exec, s[44:45]
	s_cbranch_execz .LBB14_104
.LBB14_115:                             ;   Parent Loop BB14_89 Depth=1
                                        ;     Parent Loop BB14_105 Depth=2
                                        ; =>    This Inner Loop Header: Depth=3
	s_and_b64 vcc, exec, s[12:13]
	v_add_u32_e32 v28, v33, v3
	s_cbranch_vccz .LBB14_123
; %bb.116:                              ;   in Loop: Header=BB14_115 Depth=3
	v_mad_u64_u32 v[24:25], s[46:47], v28, s29, v[10:11]
	s_cbranch_execnz .LBB14_118
.LBB14_117:                             ;   in Loop: Header=BB14_115 Depth=3
	v_add_u32_e32 v24, v31, v33
.LBB14_118:                             ;   in Loop: Header=BB14_115 Depth=3
	v_ashrrev_i32_e32 v25, 31, v24
	v_lshlrev_b64 v[24:25], 3, v[24:25]
	v_mov_b32_e32 v26, s17
	v_add_co_u32_e32 v24, vcc, s16, v24
	v_addc_co_u32_e32 v25, vcc, v26, v25, vcc
	global_load_dwordx2 v[24:25], v[24:25], off
	s_and_b64 vcc, exec, s[12:13]
	s_cbranch_vccz .LBB14_124
; %bb.119:                              ;   in Loop: Header=BB14_115 Depth=3
	v_mad_u64_u32 v[26:27], s[46:47], v28, s29, v[14:15]
	s_cbranch_execnz .LBB14_121
.LBB14_120:                             ;   in Loop: Header=BB14_115 Depth=3
	v_add_u32_e32 v26, v32, v33
.LBB14_121:                             ;   in Loop: Header=BB14_115 Depth=3
	v_ashrrev_i32_e32 v27, 31, v26
	v_lshlrev_b64 v[26:27], 3, v[26:27]
	v_mov_b32_e32 v29, s17
	v_add_co_u32_e32 v26, vcc, s16, v26
	v_addc_co_u32_e32 v27, vcc, v29, v27, vcc
	global_load_dwordx2 v[26:27], v[26:27], off
	s_and_b64 vcc, exec, s[12:13]
	s_cbranch_vccz .LBB14_125
; %bb.122:                              ;   in Loop: Header=BB14_115 Depth=3
	v_mad_u64_u32 v[28:29], s[46:47], v28, s29, v[14:15]
	s_cbranch_execnz .LBB14_114
	s_branch .LBB14_113
.LBB14_123:                             ;   in Loop: Header=BB14_115 Depth=3
                                        ; implicit-def: $vgpr24
	s_branch .LBB14_117
.LBB14_124:                             ;   in Loop: Header=BB14_115 Depth=3
                                        ; implicit-def: $vgpr26
	s_branch .LBB14_120
.LBB14_125:                             ;   in Loop: Header=BB14_115 Depth=3
                                        ; implicit-def: $vgpr28
	s_branch .LBB14_113
.LBB14_126:                             ;   in Loop: Header=BB14_105 Depth=2
                                        ; implicit-def: $vgpr20
	s_branch .LBB14_107
.LBB14_127:                             ;   in Loop: Header=BB14_105 Depth=2
                                        ; implicit-def: $vgpr22
	s_branch .LBB14_110
.LBB14_128:                             ;   in Loop: Header=BB14_89 Depth=1
	s_or_b64 exec, exec, s[38:39]
	s_and_b64 s[4:5], s[20:21], exec
	s_andn2_b64 s[34:35], s[34:35], exec
.LBB14_129:                             ;   in Loop: Header=BB14_89 Depth=1
	s_or_b64 exec, exec, s[36:37]
	s_andn2_b64 s[20:21], s[20:21], exec
	s_and_b64 s[4:5], s[4:5], exec
	s_or_b64 s[20:21], s[20:21], s[4:5]
	s_and_saveexec_b64 s[4:5], s[34:35]
	s_cbranch_execz .LBB14_88
; %bb.130:                              ;   in Loop: Header=BB14_89 Depth=1
	v_add_u32_e32 v15, 1, v10
	s_or_b64 s[20:21], s[20:21], exec
	s_branch .LBB14_88
.LBB14_131:
	s_or_b64 exec, exec, s[14:15]
	s_andn2_b64 s[0:1], s[6:7], exec
	s_and_b64 s[2:3], s[18:19], exec
	s_or_b64 s[6:7], s[0:1], s[2:3]
.LBB14_132:
	s_or_b64 exec, exec, s[10:11]
	v_add_u32_e32 v3, 1, v6
	v_cmp_lt_i32_e32 vcc, v3, v1
	s_and_saveexec_b64 s[10:11], vcc
	s_cbranch_execz .LBB14_156
; %bb.133:
	v_mul_lo_u32 v14, v6, s29
	v_mul_lo_u32 v6, s29, v14
	s_mul_i32 s31, s29, s29
	v_add_u32_e32 v15, s29, v6
	v_mul_lo_u32 v6, s31, v3
	s_cmp_lg_u32 s30, 0
	v_add3_u32 v16, v6, s29, v0
	v_cndmask_b32_e64 v6, 0, 1, s[8:9]
	v_cmp_gt_i32_e64 s[0:1], s29, v0
	s_cselect_b64 s[12:13], -1, 0
	s_add_i32 s30, s29, 1
	s_mov_b64 s[14:15], 0
	v_cmp_ne_u32_e64 s[2:3], 1, v6
	s_branch .LBB14_135
.LBB14_134:                             ;   in Loop: Header=BB14_135 Depth=1
	v_add_u32_e32 v3, 1, v3
	v_cmp_ge_i32_e32 vcc, v3, v1
	s_or_b64 s[14:15], vcc, s[14:15]
	v_add_u32_e32 v16, s31, v16
	s_andn2_b64 exec, exec, s[14:15]
	s_cbranch_execz .LBB14_156
.LBB14_135:                             ; =>This Loop Header: Depth=1
                                        ;     Child Loop BB14_138 Depth 2
                                        ;       Child Loop BB14_141 Depth 3
                                        ;         Child Loop BB14_145 Depth 4
	s_and_b64 vcc, exec, s[2:3]
	s_cbranch_vccnz .LBB14_134
; %bb.136:                              ;   in Loop: Header=BB14_135 Depth=1
	v_mul_lo_u32 v17, v3, s29
	s_mov_b32 s33, 0
	v_mov_b32_e32 v18, v16
	v_mov_b32_e32 v19, v15
	s_branch .LBB14_138
.LBB14_137:                             ;   in Loop: Header=BB14_138 Depth=2
	s_or_b64 exec, exec, s[8:9]
	v_add_u32_e32 v19, s30, v19
	v_add_u32_e32 v18, s29, v18
	s_cmp_eq_u32 s34, s29
	s_mov_b32 s33, s34
	s_cbranch_scc1 .LBB14_134
.LBB14_138:                             ;   Parent Loop BB14_135 Depth=1
                                        ; =>  This Loop Header: Depth=2
                                        ;       Child Loop BB14_141 Depth 3
                                        ;         Child Loop BB14_145 Depth 4
	s_add_i32 s34, s33, 1
	s_and_saveexec_b64 s[8:9], s[0:1]
	s_cbranch_execz .LBB14_137
; %bb.139:                              ;   in Loop: Header=BB14_138 Depth=2
	s_cmp_lt_i32 s34, s29
	v_add_u32_e32 v6, s33, v14
	v_mul_lo_u32 v20, v6, s29
	v_add_u32_e32 v6, s33, v17
	s_cselect_b64 s[4:5], -1, 0
	v_mul_lo_u32 v21, v6, s29
	v_cndmask_b32_e64 v6, 0, 1, s[4:5]
	s_mov_b64 s[18:19], 0
	v_cmp_ne_u32_e64 s[4:5], 1, v6
	v_mov_b32_e32 v22, v18
	v_mov_b32_e32 v23, v0
	s_branch .LBB14_141
.LBB14_140:                             ;   in Loop: Header=BB14_141 Depth=3
	v_add_u32_e32 v23, 64, v23
	v_cmp_le_i32_e32 vcc, s29, v23
	s_or_b64 s[18:19], vcc, s[18:19]
	v_add_u32_e32 v22, 64, v22
	s_andn2_b64 exec, exec, s[18:19]
	s_cbranch_execz .LBB14_137
.LBB14_141:                             ;   Parent Loop BB14_135 Depth=1
                                        ;     Parent Loop BB14_138 Depth=2
                                        ; =>    This Loop Header: Depth=3
                                        ;         Child Loop BB14_145 Depth 4
	s_and_b64 vcc, exec, s[4:5]
	s_cbranch_vccnz .LBB14_140
; %bb.142:                              ;   in Loop: Header=BB14_141 Depth=3
	v_add_u32_e32 v6, v23, v17
	v_mul_lo_u32 v24, v6, s29
	v_add_u32_e32 v25, s33, v24
	v_add_u32_e32 v26, v23, v21
	s_mov_b32 s35, 0
	s_mov_b32 s36, s34
	s_branch .LBB14_145
.LBB14_143:                             ;   in Loop: Header=BB14_145 Depth=4
	v_mov_b32_e32 v10, v11
.LBB14_144:                             ;   in Loop: Header=BB14_145 Depth=4
	s_waitcnt vmcnt(0)
	v_pk_fma_f32 v[12:13], v[6:7], v[8:9], v[12:13] op_sel_hi:[1,0,1] neg_lo:[1,0,0] neg_hi:[1,0,0]
	v_ashrrev_i32_e32 v11, 31, v10
	v_pk_fma_f32 v[6:7], v[6:7], v[8:9], v[12:13] op_sel:[1,1,0] op_sel_hi:[0,1,1] neg_hi:[1,0,0]
	v_lshlrev_b64 v[8:9], 3, v[10:11]
	v_mov_b32_e32 v10, s17
	v_add_co_u32_e32 v8, vcc, s16, v8
	s_add_i32 s36, s36, 1
	s_add_i32 s35, s35, s29
	v_addc_co_u32_e32 v9, vcc, v10, v9, vcc
	s_cmp_ge_i32 s36, s29
	global_store_dwordx2 v[8:9], v[6:7], off
	s_cbranch_scc1 .LBB14_140
.LBB14_145:                             ;   Parent Loop BB14_135 Depth=1
                                        ;     Parent Loop BB14_138 Depth=2
                                        ;       Parent Loop BB14_141 Depth=3
                                        ; =>      This Inner Loop Header: Depth=4
	s_and_b64 vcc, exec, s[12:13]
	s_cbranch_vccz .LBB14_153
; %bb.146:                              ;   in Loop: Header=BB14_145 Depth=4
	v_add_u32_e32 v6, s36, v20
	v_mov_b32_e32 v8, v25
	s_cbranch_execnz .LBB14_148
.LBB14_147:                             ;   in Loop: Header=BB14_145 Depth=4
	v_add_u32_e32 v6, s35, v19
	v_mov_b32_e32 v8, v26
.LBB14_148:                             ;   in Loop: Header=BB14_145 Depth=4
	v_ashrrev_i32_e32 v7, 31, v6
	v_lshlrev_b64 v[6:7], 3, v[6:7]
	v_mov_b32_e32 v9, s17
	v_add_co_u32_e32 v10, vcc, s16, v6
	v_addc_co_u32_e32 v11, vcc, v9, v7, vcc
	v_ashrrev_i32_e32 v9, 31, v8
	v_lshlrev_b64 v[6:7], 3, v[8:9]
	v_mov_b32_e32 v8, s17
	v_add_co_u32_e32 v12, vcc, s16, v6
	v_addc_co_u32_e32 v13, vcc, v8, v7, vcc
	global_load_dwordx2 v[6:7], v[10:11], off
	global_load_dwordx2 v[8:9], v[12:13], off
	s_and_b64 vcc, exec, s[12:13]
	v_add_u32_e32 v10, s36, v24
	s_cbranch_vccz .LBB14_154
; %bb.149:                              ;   in Loop: Header=BB14_145 Depth=4
	v_add_u32_e32 v12, s36, v24
	v_add_u32_e32 v11, s35, v22
	s_cbranch_execnz .LBB14_151
.LBB14_150:                             ;   in Loop: Header=BB14_145 Depth=4
	v_add_u32_e32 v12, s35, v22
.LBB14_151:                             ;   in Loop: Header=BB14_145 Depth=4
	v_ashrrev_i32_e32 v13, 31, v12
	v_lshlrev_b64 v[12:13], 3, v[12:13]
	v_mov_b32_e32 v27, s17
	v_add_co_u32_e32 v12, vcc, s16, v12
	v_addc_co_u32_e32 v13, vcc, v27, v13, vcc
	global_load_dwordx2 v[12:13], v[12:13], off
	s_and_b64 vcc, exec, s[12:13]
	s_cbranch_vccz .LBB14_155
; %bb.152:                              ;   in Loop: Header=BB14_145 Depth=4
	s_cbranch_execnz .LBB14_144
	s_branch .LBB14_143
.LBB14_153:                             ;   in Loop: Header=BB14_145 Depth=4
                                        ; implicit-def: $vgpr6
	v_mov_b32_e32 v8, v25
	s_branch .LBB14_147
.LBB14_154:                             ;   in Loop: Header=BB14_145 Depth=4
                                        ; implicit-def: $vgpr12
	v_add_u32_e32 v11, s35, v22
	s_branch .LBB14_150
.LBB14_155:                             ;   in Loop: Header=BB14_145 Depth=4
                                        ; implicit-def: $vgpr10
	s_branch .LBB14_143
.LBB14_156:
	s_or_b64 exec, exec, s[10:11]
	s_orn2_b64 s[2:3], s[6:7], exec
.LBB14_157:
	s_or_b64 exec, exec, s[26:27]
	v_cmp_eq_u32_e32 vcc, 0, v0
	s_and_b64 exec, exec, vcc
	s_cbranch_execz .LBB14_163
; %bb.158:
	v_mov_b32_e32 v1, s25
	v_add_co_u32_e32 v0, vcc, s24, v4
	v_addc_co_u32_e32 v1, vcc, v1, v5, vcc
	v_mov_b32_e32 v3, 1
	s_waitcnt vmcnt(0)
	global_store_dword v[0:1], v3, off
	s_and_b64 exec, exec, s[2:3]
	s_cbranch_execz .LBB14_163
; %bb.159:
	s_mov_b64 s[0:1], exec
	v_add_u32_e32 v0, s28, v2
	s_brev_b32 s2, -2
.LBB14_160:                             ; =>This Inner Loop Header: Depth=1
	s_ff1_i32_b64 s3, s[0:1]
	v_readlane_b32 s6, v0, s3
	s_lshl_b64 s[4:5], 1, s3
	s_min_i32 s2, s2, s6
	s_andn2_b64 s[0:1], s[0:1], s[4:5]
	s_cmp_lg_u64 s[0:1], 0
	s_cbranch_scc1 .LBB14_160
; %bb.161:
	v_mbcnt_lo_u32_b32 v0, exec_lo, 0
	v_mbcnt_hi_u32_b32 v0, exec_hi, v0
	v_cmp_eq_u32_e32 vcc, 0, v0
	s_and_saveexec_b64 s[0:1], vcc
	s_xor_b64 s[0:1], exec, s[0:1]
	s_cbranch_execz .LBB14_163
; %bb.162:
	v_mov_b32_e32 v0, 0
	v_mov_b32_e32 v1, s2
	global_atomic_smin v0, v1, s[22:23]
.LBB14_163:
	s_endpgm
	.section	.rodata,"a",@progbits
	.p2align	6, 0x0
	.amdhsa_kernel _ZN9rocsparseL15bsrilu0_generalILj128ELj64ELb1E21rocsparse_complex_numIfEEEv20rocsparse_direction_iPKiS5_PT2_S5_iPiS5_S8_21rocsparse_index_base_imNS_24const_host_device_scalarIfEENSA_IdEENSA_IS6_EEb
		.amdhsa_group_segment_fixed_size 0
		.amdhsa_private_segment_fixed_size 0
		.amdhsa_kernarg_size 116
		.amdhsa_user_sgpr_count 6
		.amdhsa_user_sgpr_private_segment_buffer 1
		.amdhsa_user_sgpr_dispatch_ptr 0
		.amdhsa_user_sgpr_queue_ptr 0
		.amdhsa_user_sgpr_kernarg_segment_ptr 1
		.amdhsa_user_sgpr_dispatch_id 0
		.amdhsa_user_sgpr_flat_scratch_init 0
		.amdhsa_user_sgpr_kernarg_preload_length 0
		.amdhsa_user_sgpr_kernarg_preload_offset 0
		.amdhsa_user_sgpr_private_segment_size 0
		.amdhsa_uses_dynamic_stack 0
		.amdhsa_system_sgpr_private_segment_wavefront_offset 0
		.amdhsa_system_sgpr_workgroup_id_x 1
		.amdhsa_system_sgpr_workgroup_id_y 0
		.amdhsa_system_sgpr_workgroup_id_z 0
		.amdhsa_system_sgpr_workgroup_info 0
		.amdhsa_system_vgpr_workitem_id 0
		.amdhsa_next_free_vgpr 45
		.amdhsa_next_free_sgpr 67
		.amdhsa_accum_offset 48
		.amdhsa_reserve_vcc 1
		.amdhsa_reserve_flat_scratch 0
		.amdhsa_float_round_mode_32 0
		.amdhsa_float_round_mode_16_64 0
		.amdhsa_float_denorm_mode_32 3
		.amdhsa_float_denorm_mode_16_64 3
		.amdhsa_dx10_clamp 1
		.amdhsa_ieee_mode 1
		.amdhsa_fp16_overflow 0
		.amdhsa_tg_split 0
		.amdhsa_exception_fp_ieee_invalid_op 0
		.amdhsa_exception_fp_denorm_src 0
		.amdhsa_exception_fp_ieee_div_zero 0
		.amdhsa_exception_fp_ieee_overflow 0
		.amdhsa_exception_fp_ieee_underflow 0
		.amdhsa_exception_fp_ieee_inexact 0
		.amdhsa_exception_int_div_zero 0
	.end_amdhsa_kernel
	.section	.text._ZN9rocsparseL15bsrilu0_generalILj128ELj64ELb1E21rocsparse_complex_numIfEEEv20rocsparse_direction_iPKiS5_PT2_S5_iPiS5_S8_21rocsparse_index_base_imNS_24const_host_device_scalarIfEENSA_IdEENSA_IS6_EEb,"axG",@progbits,_ZN9rocsparseL15bsrilu0_generalILj128ELj64ELb1E21rocsparse_complex_numIfEEEv20rocsparse_direction_iPKiS5_PT2_S5_iPiS5_S8_21rocsparse_index_base_imNS_24const_host_device_scalarIfEENSA_IdEENSA_IS6_EEb,comdat
.Lfunc_end14:
	.size	_ZN9rocsparseL15bsrilu0_generalILj128ELj64ELb1E21rocsparse_complex_numIfEEEv20rocsparse_direction_iPKiS5_PT2_S5_iPiS5_S8_21rocsparse_index_base_imNS_24const_host_device_scalarIfEENSA_IdEENSA_IS6_EEb, .Lfunc_end14-_ZN9rocsparseL15bsrilu0_generalILj128ELj64ELb1E21rocsparse_complex_numIfEEEv20rocsparse_direction_iPKiS5_PT2_S5_iPiS5_S8_21rocsparse_index_base_imNS_24const_host_device_scalarIfEENSA_IdEENSA_IS6_EEb
                                        ; -- End function
	.section	.AMDGPU.csdata,"",@progbits
; Kernel info:
; codeLenInByte = 4568
; NumSgprs: 71
; NumVgprs: 45
; NumAgprs: 0
; TotalNumVgprs: 45
; ScratchSize: 0
; MemoryBound: 0
; FloatMode: 240
; IeeeMode: 1
; LDSByteSize: 0 bytes/workgroup (compile time only)
; SGPRBlocks: 8
; VGPRBlocks: 5
; NumSGPRsForWavesPerEU: 71
; NumVGPRsForWavesPerEU: 45
; AccumOffset: 48
; Occupancy: 8
; WaveLimiterHint : 1
; COMPUTE_PGM_RSRC2:SCRATCH_EN: 0
; COMPUTE_PGM_RSRC2:USER_SGPR: 6
; COMPUTE_PGM_RSRC2:TRAP_HANDLER: 0
; COMPUTE_PGM_RSRC2:TGID_X_EN: 1
; COMPUTE_PGM_RSRC2:TGID_Y_EN: 0
; COMPUTE_PGM_RSRC2:TGID_Z_EN: 0
; COMPUTE_PGM_RSRC2:TIDIG_COMP_CNT: 0
; COMPUTE_PGM_RSRC3_GFX90A:ACCUM_OFFSET: 11
; COMPUTE_PGM_RSRC3_GFX90A:TG_SPLIT: 0
	.section	.text._ZN9rocsparseL15bsrilu0_generalILj128ELj32ELb0E21rocsparse_complex_numIfEEEv20rocsparse_direction_iPKiS5_PT2_S5_iPiS5_S8_21rocsparse_index_base_imNS_24const_host_device_scalarIfEENSA_IdEENSA_IS6_EEb,"axG",@progbits,_ZN9rocsparseL15bsrilu0_generalILj128ELj32ELb0E21rocsparse_complex_numIfEEEv20rocsparse_direction_iPKiS5_PT2_S5_iPiS5_S8_21rocsparse_index_base_imNS_24const_host_device_scalarIfEENSA_IdEENSA_IS6_EEb,comdat
	.globl	_ZN9rocsparseL15bsrilu0_generalILj128ELj32ELb0E21rocsparse_complex_numIfEEEv20rocsparse_direction_iPKiS5_PT2_S5_iPiS5_S8_21rocsparse_index_base_imNS_24const_host_device_scalarIfEENSA_IdEENSA_IS6_EEb ; -- Begin function _ZN9rocsparseL15bsrilu0_generalILj128ELj32ELb0E21rocsparse_complex_numIfEEEv20rocsparse_direction_iPKiS5_PT2_S5_iPiS5_S8_21rocsparse_index_base_imNS_24const_host_device_scalarIfEENSA_IdEENSA_IS6_EEb
	.p2align	8
	.type	_ZN9rocsparseL15bsrilu0_generalILj128ELj32ELb0E21rocsparse_complex_numIfEEEv20rocsparse_direction_iPKiS5_PT2_S5_iPiS5_S8_21rocsparse_index_base_imNS_24const_host_device_scalarIfEENSA_IdEENSA_IS6_EEb,@function
_ZN9rocsparseL15bsrilu0_generalILj128ELj32ELb0E21rocsparse_complex_numIfEEEv20rocsparse_direction_iPKiS5_PT2_S5_iPiS5_S8_21rocsparse_index_base_imNS_24const_host_device_scalarIfEENSA_IdEENSA_IS6_EEb: ; @_ZN9rocsparseL15bsrilu0_generalILj128ELj32ELb0E21rocsparse_complex_numIfEEEv20rocsparse_direction_iPKiS5_PT2_S5_iPiS5_S8_21rocsparse_index_base_imNS_24const_host_device_scalarIfEENSA_IdEENSA_IS6_EEb
; %bb.0:
	s_load_dword s0, s[4:5], 0x70
	s_load_dwordx2 s[28:29], s[4:5], 0x48
	s_load_dwordx8 s[20:27], s[4:5], 0x50
	s_waitcnt lgkmcnt(0)
	s_bitcmp1_b32 s0, 0
	s_cselect_b64 s[2:3], -1, 0
	s_cmp_lg_u32 s29, 0
	s_cselect_b64 s[8:9], -1, 0
	s_cmp_eq_u32 s29, 0
	s_cselect_b64 s[12:13], -1, 0
	s_and_b64 s[0:1], s[12:13], exec
	s_cselect_b32 s10, 0, s24
	s_cselect_b32 s11, 0, s25
	s_or_b64 s[14:15], s[12:13], s[2:3]
	s_xor_b64 s[0:1], s[14:15], -1
	s_and_b64 vcc, exec, s[14:15]
	s_cbranch_vccnz .LBB15_2
; %bb.1:
	s_load_dword s7, s[22:23], 0x0
	s_mov_b64 s[10:11], s[24:25]
	s_waitcnt lgkmcnt(0)
	v_mov_b32_e32 v36, s7
	s_andn2_b64 vcc, exec, s[0:1]
	v_pk_mov_b32 v[8:9], s[10:11], s[10:11] op_sel:[0,1]
	s_cbranch_vccz .LBB15_3
	s_branch .LBB15_4
.LBB15_2:
	v_mov_b32_e32 v1, s22
	v_cndmask_b32_e64 v36, v1, 0, s[12:13]
	s_andn2_b64 vcc, exec, s[0:1]
	v_pk_mov_b32 v[8:9], s[10:11], s[10:11] op_sel:[0,1]
	s_cbranch_vccnz .LBB15_4
.LBB15_3:
	v_pk_mov_b32 v[2:3], s[24:25], s[24:25] op_sel:[0,1]
	flat_load_dwordx2 v[8:9], v[2:3]
.LBB15_4:
	v_cndmask_b32_e64 v1, 0, 1, s[8:9]
	s_mov_b32 s60, 0
	v_cmp_ne_u32_e64 s[0:1], 1, v1
	s_andn2_b64 vcc, exec, s[8:9]
	s_mov_b32 s33, 0
	s_cbranch_vccnz .LBB15_10
; %bb.5:
	s_xor_b64 s[8:9], s[2:3], -1
	v_cndmask_b32_e64 v1, 0, 1, s[8:9]
	v_cmp_ne_u32_e64 s[2:3], 1, v1
	s_andn2_b64 vcc, exec, s[8:9]
	s_mov_b32 s33, s26
	s_cbranch_vccnz .LBB15_7
; %bb.6:
	s_load_dword s33, s[26:27], 0x0
.LBB15_7:
	s_and_b64 vcc, exec, s[2:3]
	s_cbranch_vccnz .LBB15_9
; %bb.8:
	s_load_dword s27, s[26:27], 0x4
.LBB15_9:
	s_waitcnt lgkmcnt(0)
	s_mov_b32 s60, s27
.LBB15_10:
	s_load_dwordx2 s[30:31], s[4:5], 0x0
	s_lshl_b32 s2, s6, 2
	v_lshrrev_b32_e32 v1, 5, v0
	s_and_b32 s2, s2, 0x7fffffc
	v_or_b32_e32 v1, s2, v1
	s_waitcnt lgkmcnt(0)
	v_cmp_gt_i32_e32 vcc, s31, v1
	s_and_saveexec_b64 s[2:3], vcc
	s_cbranch_execz .LBB15_161
; %bb.11:
	s_load_dwordx4 s[24:27], s[4:5], 0x30
	s_load_dwordx2 s[22:23], s[4:5], 0x40
	v_lshlrev_b32_e32 v1, 2, v1
	s_load_dwordx8 s[12:19], s[4:5], 0x8
	v_and_b32_e32 v0, 31, v0
	s_waitcnt lgkmcnt(0)
	global_load_dword v2, v1, s[26:27]
	s_mov_b64 s[2:3], -1
	v_mov_b32_e32 v1, s19
	s_waitcnt vmcnt(0)
	v_ashrrev_i32_e32 v3, 31, v2
	v_lshlrev_b64 v[4:5], 2, v[2:3]
	v_add_co_u32_e32 v6, vcc, s18, v4
	v_addc_co_u32_e32 v7, vcc, v1, v5, vcc
	global_load_dword v6, v[6:7], off
	s_waitcnt vmcnt(0)
	v_cmp_ne_u32_e32 vcc, -1, v6
	s_and_saveexec_b64 s[26:27], vcc
	s_cbranch_execz .LBB15_155
; %bb.12:
	v_mov_b32_e32 v1, s13
	v_add_co_u32_e32 v10, vcc, s12, v4
	v_addc_co_u32_e32 v11, vcc, v1, v5, vcc
	global_load_dwordx2 v[10:11], v[10:11], off
	s_load_dword s29, s[4:5], 0x28
	s_mov_b64 s[6:7], 0
	s_waitcnt vmcnt(0)
	v_subrev_u32_e32 v10, s28, v10
	v_subrev_u32_e32 v1, s28, v11
	v_cmp_lt_i32_e32 vcc, v10, v6
	s_and_saveexec_b64 s[34:35], vcc
	s_cbranch_execz .LBB15_84
; %bb.13:
	s_waitcnt lgkmcnt(0)
	s_cmp_gt_i32 s29, 0
	s_cselect_b64 s[8:9], -1, 0
	s_cmp_lg_u32 s30, 0
	s_cselect_b64 s[36:37], -1, 0
	v_add_u32_e32 v12, v10, v0
	s_add_i32 s31, s31, 1
	v_ashrrev_i32_e32 v13, 31, v12
	s_add_u32 s61, s12, 4
	v_lshlrev_b64 v[14:15], 2, v[12:13]
	s_addc_u32 s62, s13, 0
	v_cndmask_b32_e64 v11, 0, 1, s[8:9]
	v_mov_b32_e32 v3, s15
	v_add_co_u32_e32 v14, vcc, s14, v14
	s_add_u32 s63, s14, 0x80
	v_mad_u64_u32 v[16:17], s[10:11], s29, v10, v[0:1]
	v_cmp_ne_u32_e64 s[8:9], 1, v11
	v_mbcnt_lo_u32_b32 v11, -1, 0
	v_cmp_gt_i32_e64 s[2:3], s29, v0
	v_cmp_le_i32_e64 s[4:5], s29, v0
	v_cmp_lt_i32_e64 s[6:7], v12, v1
	v_addc_co_u32_e32 v15, vcc, v3, v15, vcc
	s_addc_u32 s64, s15, 0
	v_mul_lo_u32 v7, s29, v16
	s_mul_i32 s65, s29, s29
	s_lshl_b32 s66, s29, 5
	s_mov_b64 s[44:45], 0
	s_mov_b64 s[38:39], 0
	v_mov_b32_e32 v13, s19
	v_mbcnt_hi_u32_b32 v37, -1, v11
                                        ; implicit-def: $sgpr40_sgpr41
                                        ; implicit-def: $sgpr42_sgpr43
	s_branch .LBB15_16
.LBB15_14:                              ;   in Loop: Header=BB15_16 Depth=1
	s_or_b64 exec, exec, s[12:13]
	s_andn2_b64 s[12:13], s[42:43], exec
	s_and_b64 s[42:43], s[44:45], exec
	s_or_b64 s[42:43], s[12:13], s[42:43]
.LBB15_15:                              ;   in Loop: Header=BB15_16 Depth=1
	s_or_b64 exec, exec, s[46:47]
	v_add_u32_e32 v10, 1, v10
	v_cmp_ge_i32_e32 vcc, v10, v6
	s_xor_b64 s[10:11], s[10:11], -1
	s_or_b64 s[10:11], s[10:11], vcc
	s_and_b64 s[10:11], exec, s[10:11]
	s_or_b64 s[38:39], s[10:11], s[38:39]
	s_andn2_b64 s[10:11], s[40:41], exec
	s_and_b64 s[12:13], s[42:43], exec
	v_add_u32_e32 v7, s65, v7
	s_or_b64 s[40:41], s[10:11], s[12:13]
	s_mov_b64 s[44:45], s[42:43]
	s_andn2_b64 exec, exec, s[38:39]
	s_cbranch_execz .LBB15_83
.LBB15_16:                              ; =>This Loop Header: Depth=1
                                        ;     Child Loop BB15_19 Depth 2
                                        ;     Child Loop BB15_24 Depth 2
                                        ;       Child Loop BB15_29 Depth 3
                                        ;         Child Loop BB15_39 Depth 4
                                        ;     Child Loop BB15_57 Depth 2
                                        ;       Child Loop BB15_62 Depth 3
                                        ;       Child Loop BB15_69 Depth 3
                                        ;         Child Loop BB15_72 Depth 4
                                        ;           Child Loop BB15_74 Depth 5
	v_ashrrev_i32_e32 v11, 31, v10
	v_lshlrev_b64 v[16:17], 2, v[10:11]
	v_add_co_u32_e32 v16, vcc, s14, v16
	v_addc_co_u32_e32 v17, vcc, v3, v17, vcc
	global_load_dword v11, v[16:17], off
	s_or_b64 s[42:43], s[42:43], exec
	s_waitcnt vmcnt(0)
	v_subrev_u32_e32 v16, s28, v11
	v_ashrrev_i32_e32 v17, 31, v16
	v_lshlrev_b64 v[16:17], 2, v[16:17]
	s_waitcnt lgkmcnt(0)
	v_add_co_u32_e32 v18, vcc, s18, v16
	v_addc_co_u32_e32 v19, vcc, v13, v17, vcc
	global_load_dword v25, v[18:19], off
	s_waitcnt vmcnt(0)
	v_cmp_ne_u32_e64 s[10:11], -1, v25
	s_and_saveexec_b64 s[46:47], s[10:11]
	s_cbranch_execz .LBB15_15
; %bb.17:                               ;   in Loop: Header=BB15_16 Depth=1
	v_mov_b32_e32 v11, s62
	v_add_co_u32_e32 v18, vcc, s61, v16
	v_addc_co_u32_e32 v19, vcc, v11, v17, vcc
	v_mov_b32_e32 v11, s25
	v_add_co_u32_e32 v16, vcc, s24, v16
	v_addc_co_u32_e32 v17, vcc, v11, v17, vcc
	global_load_dword v38, v[18:19], off
	global_load_dword v11, v[16:17], off glc
	s_waitcnt vmcnt(0)
	v_cmp_eq_u32_e32 vcc, 0, v11
	s_and_saveexec_b64 s[12:13], vcc
	s_cbranch_execz .LBB15_20
; %bb.18:                               ;   in Loop: Header=BB15_16 Depth=1
	s_mov_b64 s[48:49], 0
.LBB15_19:                              ;   Parent Loop BB15_16 Depth=1
                                        ; =>  This Inner Loop Header: Depth=2
	global_load_dword v11, v[16:17], off glc
	s_waitcnt vmcnt(0)
	v_cmp_ne_u32_e32 vcc, 0, v11
	s_or_b64 s[48:49], vcc, s[48:49]
	s_andn2_b64 exec, exec, s[48:49]
	s_cbranch_execnz .LBB15_19
.LBB15_20:                              ;   in Loop: Header=BB15_16 Depth=1
	s_or_b64 exec, exec, s[12:13]
	s_and_b64 vcc, exec, s[8:9]
	v_mul_lo_u32 v11, v10, s29
	buffer_wbinvl1_vol
	s_cbranch_vccnz .LBB15_53
; %bb.21:                               ;   in Loop: Header=BB15_16 Depth=1
	v_mul_lo_u32 v17, v25, s29
	s_mov_b64 s[48:49], 0
	v_mov_b32_e32 v16, 0
	s_branch .LBB15_24
.LBB15_22:                              ;   in Loop: Header=BB15_24 Depth=2
	s_or_b64 exec, exec, s[52:53]
	v_mov_b32_e32 v16, v39
.LBB15_23:                              ;   in Loop: Header=BB15_24 Depth=2
	s_or_b64 exec, exec, s[50:51]
	v_cmp_eq_u32_e32 vcc, s29, v16
	s_or_b64 s[48:49], vcc, s[48:49]
	s_andn2_b64 exec, exec, s[48:49]
	s_cbranch_execz .LBB15_52
.LBB15_24:                              ;   Parent Loop BB15_16 Depth=1
                                        ; =>  This Loop Header: Depth=2
                                        ;       Child Loop BB15_29 Depth 3
                                        ;         Child Loop BB15_39 Depth 4
	v_add_u32_e32 v39, 1, v16
	s_and_saveexec_b64 s[12:13], s[4:5]
	s_xor_b64 s[12:13], exec, s[12:13]
; %bb.25:                               ;   in Loop: Header=BB15_24 Depth=2
	v_add_u32_e32 v16, 1, v16
                                        ; implicit-def: $vgpr39
; %bb.26:                               ;   in Loop: Header=BB15_24 Depth=2
	s_andn2_saveexec_b64 s[50:51], s[12:13]
	s_cbranch_execz .LBB15_23
; %bb.27:                               ;   in Loop: Header=BB15_24 Depth=2
	v_add_u32_e32 v18, v16, v17
	v_mul_lo_u32 v40, v18, s29
	v_add_u32_e32 v18, v40, v16
	v_ashrrev_i32_e32 v19, 31, v18
	v_lshlrev_b64 v[18:19], 3, v[18:19]
	v_mov_b32_e32 v20, s17
	v_add_co_u32_e32 v18, vcc, s16, v18
	v_addc_co_u32_e32 v19, vcc, v20, v19, vcc
	global_load_dwordx2 v[18:19], v[18:19], off
	v_add_u32_e32 v20, v16, v11
	v_cmp_gt_i32_e64 s[12:13], s29, v39
	s_mov_b64 s[52:53], 0
	v_mov_b32_e32 v41, v7
	v_mul_lo_u32 v42, v20, s29
	s_waitcnt vmcnt(0)
	v_mul_f32_e32 v22, v19, v19
	v_fmac_f32_e32 v22, v18, v18
	v_div_scale_f32 v23, s[54:55], v22, v22, 1.0
	v_rcp_f32_e32 v24, v23
	v_div_scale_f32 v26, vcc, 1.0, v22, 1.0
	v_mov_b32_e32 v20, v18
	v_fma_f32 v27, -v23, v24, 1.0
	v_fmac_f32_e32 v24, v27, v24
	v_mul_f32_e32 v27, v26, v24
	v_fma_f32 v28, -v23, v27, v26
	v_fmac_f32_e32 v27, v28, v24
	v_fma_f32 v23, -v23, v27, v26
	v_div_fmas_f32 v23, v23, v24, v27
	v_div_fixup_f32 v22, v23, v22, 1.0
	v_mov_b32_e32 v21, v18
	v_mov_b32_e32 v18, v19
	;; [unrolled: 1-line block ×4, first 2 shown]
	s_branch .LBB15_29
.LBB15_28:                              ;   in Loop: Header=BB15_29 Depth=3
	s_or_b64 exec, exec, s[54:55]
	v_add_u32_e32 v24, 32, v24
	v_cmp_le_i32_e32 vcc, s29, v24
	s_or_b64 s[52:53], vcc, s[52:53]
	v_add_u32_e32 v41, s66, v41
	s_andn2_b64 exec, exec, s[52:53]
	s_cbranch_execz .LBB15_22
.LBB15_29:                              ;   Parent Loop BB15_16 Depth=1
                                        ;     Parent Loop BB15_24 Depth=2
                                        ; =>    This Loop Header: Depth=3
                                        ;         Child Loop BB15_39 Depth 4
	s_and_b64 vcc, exec, s[36:37]
	v_add_u32_e32 v28, v24, v42
	s_cbranch_vccz .LBB15_50
; %bb.30:                               ;   in Loop: Header=BB15_29 Depth=3
	v_add_u32_e32 v26, v24, v42
	v_add_u32_e32 v29, v24, v11
	s_cbranch_execnz .LBB15_32
.LBB15_31:                              ;   in Loop: Header=BB15_29 Depth=3
	v_mad_u64_u32 v[26:27], s[54:55], v29, s29, v[16:17]
.LBB15_32:                              ;   in Loop: Header=BB15_29 Depth=3
	v_ashrrev_i32_e32 v27, 31, v26
	v_lshlrev_b64 v[26:27], 3, v[26:27]
	v_mov_b32_e32 v30, s17
	v_add_co_u32_e32 v26, vcc, s16, v26
	v_addc_co_u32_e32 v27, vcc, v30, v27, vcc
	global_load_dwordx2 v[26:27], v[26:27], off
	s_and_b64 vcc, exec, s[36:37]
	s_cbranch_vccz .LBB15_51
; %bb.33:                               ;   in Loop: Header=BB15_29 Depth=3
	s_cbranch_execnz .LBB15_35
.LBB15_34:                              ;   in Loop: Header=BB15_29 Depth=3
	v_mad_u64_u32 v[28:29], s[54:55], v29, s29, v[16:17]
.LBB15_35:                              ;   in Loop: Header=BB15_29 Depth=3
	v_ashrrev_i32_e32 v29, 31, v28
	s_waitcnt vmcnt(0)
	v_pk_mul_f32 v[30:31], v[18:19], v[26:27] op_sel:[0,1] op_sel_hi:[1,0] neg_hi:[0,1]
	v_lshlrev_b64 v[28:29], 3, v[28:29]
	v_pk_fma_f32 v[26:27], v[26:27], v[20:21], v[30:31]
	v_mov_b32_e32 v30, s17
	v_add_co_u32_e32 v28, vcc, s16, v28
	v_pk_mul_f32 v[26:27], v[22:23], v[26:27]
	v_addc_co_u32_e32 v29, vcc, v30, v29, vcc
	global_store_dwordx2 v[28:29], v[26:27], off
	s_and_saveexec_b64 s[54:55], s[12:13]
	s_cbranch_execz .LBB15_28
; %bb.36:                               ;   in Loop: Header=BB15_29 Depth=3
	v_xor_b32_e32 v29, 0x80000000, v26
	v_mov_b32_e32 v28, v27
	s_mov_b64 s[56:57], 0
	v_mov_b32_e32 v43, v39
	s_branch .LBB15_39
.LBB15_37:                              ;   in Loop: Header=BB15_39 Depth=4
	v_mov_b32_e32 v34, v44
.LBB15_38:                              ;   in Loop: Header=BB15_39 Depth=4
	s_waitcnt vmcnt(0)
	v_pk_fma_f32 v[32:33], v[26:27], v[30:31], v[32:33] op_sel_hi:[1,0,1] neg_lo:[1,0,0] neg_hi:[1,0,0]
	v_ashrrev_i32_e32 v35, 31, v34
	v_pk_fma_f32 v[30:31], v[28:29], v[30:31], v[32:33] op_sel:[0,1,0]
	v_lshlrev_b64 v[32:33], 3, v[34:35]
	v_mov_b32_e32 v34, s17
	v_add_co_u32_e32 v32, vcc, s16, v32
	v_addc_co_u32_e32 v33, vcc, v34, v33, vcc
	v_add_u32_e32 v43, 1, v43
	v_cmp_le_i32_e32 vcc, s29, v43
	s_or_b64 s[56:57], vcc, s[56:57]
	global_store_dwordx2 v[32:33], v[30:31], off
	s_andn2_b64 exec, exec, s[56:57]
	s_cbranch_execz .LBB15_28
.LBB15_39:                              ;   Parent Loop BB15_16 Depth=1
                                        ;     Parent Loop BB15_24 Depth=2
                                        ;       Parent Loop BB15_29 Depth=3
                                        ; =>      This Inner Loop Header: Depth=4
	s_and_b64 vcc, exec, s[36:37]
	s_cbranch_vccz .LBB15_47
; %bb.40:                               ;   in Loop: Header=BB15_39 Depth=4
	v_add_u32_e32 v30, v43, v17
	v_mad_u64_u32 v[30:31], s[58:59], v30, s29, v[16:17]
	s_cbranch_execnz .LBB15_42
.LBB15_41:                              ;   in Loop: Header=BB15_39 Depth=4
	v_add_u32_e32 v30, v40, v43
.LBB15_42:                              ;   in Loop: Header=BB15_39 Depth=4
	v_ashrrev_i32_e32 v31, 31, v30
	v_lshlrev_b64 v[30:31], 3, v[30:31]
	v_mov_b32_e32 v32, s17
	v_add_co_u32_e32 v30, vcc, s16, v30
	v_addc_co_u32_e32 v31, vcc, v32, v31, vcc
	global_load_dwordx2 v[30:31], v[30:31], off
	s_and_b64 vcc, exec, s[36:37]
	v_add_u32_e32 v34, v43, v11
	s_cbranch_vccz .LBB15_48
; %bb.43:                               ;   in Loop: Header=BB15_39 Depth=4
	v_mad_u64_u32 v[32:33], s[58:59], v34, s29, v[24:25]
	v_add_u32_e32 v44, v41, v43
	s_cbranch_execnz .LBB15_45
.LBB15_44:                              ;   in Loop: Header=BB15_39 Depth=4
	v_add_u32_e32 v32, v41, v43
.LBB15_45:                              ;   in Loop: Header=BB15_39 Depth=4
	v_ashrrev_i32_e32 v33, 31, v32
	v_lshlrev_b64 v[32:33], 3, v[32:33]
	v_mov_b32_e32 v35, s17
	v_add_co_u32_e32 v32, vcc, s16, v32
	v_addc_co_u32_e32 v33, vcc, v35, v33, vcc
	global_load_dwordx2 v[32:33], v[32:33], off
	s_and_b64 vcc, exec, s[36:37]
	s_cbranch_vccz .LBB15_49
; %bb.46:                               ;   in Loop: Header=BB15_39 Depth=4
	v_mad_u64_u32 v[34:35], s[58:59], v34, s29, v[24:25]
	s_cbranch_execnz .LBB15_38
	s_branch .LBB15_37
.LBB15_47:                              ;   in Loop: Header=BB15_39 Depth=4
                                        ; implicit-def: $vgpr30
	s_branch .LBB15_41
.LBB15_48:                              ;   in Loop: Header=BB15_39 Depth=4
                                        ; implicit-def: $vgpr32
	v_add_u32_e32 v44, v41, v43
	s_branch .LBB15_44
.LBB15_49:                              ;   in Loop: Header=BB15_39 Depth=4
                                        ; implicit-def: $vgpr34
	s_branch .LBB15_37
.LBB15_50:                              ;   in Loop: Header=BB15_29 Depth=3
                                        ; implicit-def: $vgpr26
	v_add_u32_e32 v29, v24, v11
	s_branch .LBB15_31
.LBB15_51:                              ;   in Loop: Header=BB15_29 Depth=3
                                        ; implicit-def: $vgpr28
	s_branch .LBB15_34
.LBB15_52:                              ;   in Loop: Header=BB15_16 Depth=1
	s_or_b64 exec, exec, s[48:49]
.LBB15_53:                              ;   in Loop: Header=BB15_16 Depth=1
	v_subrev_u32_e32 v26, s28, v38
	v_add_u32_e32 v16, 1, v25
	v_cmp_lt_i32_e32 vcc, v16, v26
	s_and_saveexec_b64 s[12:13], vcc
	s_cbranch_execz .LBB15_14
; %bb.54:                               ;   in Loop: Header=BB15_16 Depth=1
	v_mul_lo_u32 v27, s65, v16
	s_mov_b64 s[48:49], 0
	s_branch .LBB15_57
.LBB15_55:                              ;   in Loop: Header=BB15_57 Depth=2
	s_or_b64 exec, exec, s[50:51]
.LBB15_56:                              ;   in Loop: Header=BB15_57 Depth=2
	v_add_u32_e32 v16, 1, v16
	v_cmp_ge_i32_e32 vcc, v16, v26
	s_or_b64 s[48:49], vcc, s[48:49]
	v_add_u32_e32 v27, s65, v27
	s_andn2_b64 exec, exec, s[48:49]
	s_cbranch_execz .LBB15_14
.LBB15_57:                              ;   Parent Loop BB15_16 Depth=1
                                        ; =>  This Loop Header: Depth=2
                                        ;       Child Loop BB15_62 Depth 3
                                        ;       Child Loop BB15_69 Depth 3
                                        ;         Child Loop BB15_72 Depth 4
                                        ;           Child Loop BB15_74 Depth 5
	v_ashrrev_i32_e32 v17, 31, v16
	s_waitcnt lgkmcnt(0)
	v_lshlrev_b64 v[18:19], 2, v[16:17]
	v_mov_b32_e32 v17, s15
	v_add_co_u32_e32 v18, vcc, s14, v18
	v_addc_co_u32_e32 v19, vcc, v17, v19, vcc
	global_load_dword v17, v[18:19], off
	v_mov_b32_e32 v19, s31
	s_and_saveexec_b64 s[50:51], s[6:7]
	s_cbranch_execz .LBB15_59
; %bb.58:                               ;   in Loop: Header=BB15_57 Depth=2
	global_load_dword v18, v[14:15], off
	s_waitcnt vmcnt(0)
	v_subrev_u32_e32 v19, s28, v18
.LBB15_59:                              ;   in Loop: Header=BB15_57 Depth=2
	s_or_b64 exec, exec, s[50:51]
	s_waitcnt vmcnt(0)
	v_subrev_u32_e32 v17, s28, v17
	v_cmp_lt_i32_e32 vcc, v19, v17
	v_mov_b32_e32 v20, v12
	s_and_saveexec_b64 s[50:51], vcc
	s_cbranch_execz .LBB15_65
; %bb.60:                               ;   in Loop: Header=BB15_57 Depth=2
	s_mov_b64 s[52:53], 0
	v_mov_b32_e32 v18, v12
	s_branch .LBB15_62
.LBB15_61:                              ;   in Loop: Header=BB15_62 Depth=3
	s_or_b64 exec, exec, s[54:55]
	v_cmp_ge_i32_e32 vcc, v19, v17
	s_or_b64 s[52:53], vcc, s[52:53]
	v_mov_b32_e32 v18, v20
	s_andn2_b64 exec, exec, s[52:53]
	s_cbranch_execz .LBB15_64
.LBB15_62:                              ;   Parent Loop BB15_16 Depth=1
                                        ;     Parent Loop BB15_57 Depth=2
                                        ; =>    This Inner Loop Header: Depth=3
	v_add_u32_e32 v20, 32, v18
	v_cmp_lt_i32_e32 vcc, v20, v1
	v_mov_b32_e32 v19, s31
	s_and_saveexec_b64 s[54:55], vcc
	s_cbranch_execz .LBB15_61
; %bb.63:                               ;   in Loop: Header=BB15_62 Depth=3
	v_ashrrev_i32_e32 v19, 31, v18
	v_lshlrev_b64 v[18:19], 2, v[18:19]
	v_mov_b32_e32 v21, s64
	v_add_co_u32_e32 v18, vcc, s63, v18
	v_addc_co_u32_e32 v19, vcc, v21, v19, vcc
	global_load_dword v18, v[18:19], off
	s_waitcnt vmcnt(0)
	v_subrev_u32_e32 v19, s28, v18
	s_branch .LBB15_61
.LBB15_64:                              ;   in Loop: Header=BB15_57 Depth=2
	s_or_b64 exec, exec, s[52:53]
.LBB15_65:                              ;   in Loop: Header=BB15_57 Depth=2
	s_or_b64 exec, exec, s[50:51]
	v_cmp_eq_u32_e32 vcc, v19, v17
	s_cbranch_vccz .LBB15_56
; %bb.66:                               ;   in Loop: Header=BB15_57 Depth=2
	s_ff1_i32_b64 s19, vcc
	v_and_or_b32 v17, v37, 64, s19
	v_lshlrev_b32_e32 v17, 2, v17
	ds_bpermute_b32 v18, v17, v20
	s_and_saveexec_b64 s[50:51], s[2:3]
	s_cbranch_execz .LBB15_55
; %bb.67:                               ;   in Loop: Header=BB15_57 Depth=2
	v_mul_lo_u32 v17, v16, s29
	s_waitcnt lgkmcnt(0)
	v_mul_lo_u32 v19, v18, s29
	s_mov_b64 s[52:53], 0
	v_mov_b32_e32 v28, v7
	v_mov_b32_e32 v18, v0
	s_branch .LBB15_69
.LBB15_68:                              ;   in Loop: Header=BB15_69 Depth=3
	v_add_u32_e32 v18, 32, v18
	v_cmp_le_i32_e32 vcc, s29, v18
	s_or_b64 s[52:53], vcc, s[52:53]
	v_add_u32_e32 v28, s66, v28
	s_andn2_b64 exec, exec, s[52:53]
	s_cbranch_execz .LBB15_55
.LBB15_69:                              ;   Parent Loop BB15_16 Depth=1
                                        ;     Parent Loop BB15_57 Depth=2
                                        ; =>    This Loop Header: Depth=3
                                        ;         Child Loop BB15_72 Depth 4
                                        ;           Child Loop BB15_74 Depth 5
	v_add_u32_e32 v20, v18, v19
	v_mul_lo_u32 v29, v20, s29
	s_mov_b32 s19, 0
	v_mov_b32_e32 v30, v27
	s_branch .LBB15_72
.LBB15_70:                              ;   in Loop: Header=BB15_72 Depth=4
	v_add_u32_e32 v22, s19, v29
.LBB15_71:                              ;   in Loop: Header=BB15_72 Depth=4
	v_ashrrev_i32_e32 v23, 31, v22
	v_lshlrev_b64 v[22:23], 3, v[22:23]
	v_mov_b32_e32 v24, s17
	v_add_co_u32_e32 v22, vcc, s16, v22
	v_addc_co_u32_e32 v23, vcc, v24, v23, vcc
	global_load_dwordx2 v[24:25], v[22:23], off
	s_add_i32 s19, s19, 1
	s_cmp_eq_u32 s19, s29
	v_add_u32_e32 v30, 1, v30
	s_waitcnt vmcnt(0)
	v_pk_add_f32 v[20:21], v[24:25], v[20:21] neg_lo:[0,1] neg_hi:[0,1]
	global_store_dwordx2 v[22:23], v[20:21], off
	s_cbranch_scc1 .LBB15_68
.LBB15_72:                              ;   Parent Loop BB15_16 Depth=1
                                        ;     Parent Loop BB15_57 Depth=2
                                        ;       Parent Loop BB15_69 Depth=3
                                        ; =>      This Loop Header: Depth=4
                                        ;           Child Loop BB15_74 Depth 5
	v_add_u32_e32 v20, s19, v17
	v_mul_lo_u32 v31, v20, s29
	v_mov_b32_e32 v20, 0
	v_mov_b32_e32 v32, v30
	s_mov_b32 s56, 0
	v_mov_b32_e32 v21, v20
	s_branch .LBB15_74
.LBB15_73:                              ;   in Loop: Header=BB15_74 Depth=5
	v_ashrrev_i32_e32 v25, 31, v24
	v_lshlrev_b64 v[24:25], 3, v[24:25]
	v_mov_b32_e32 v33, s17
	v_add_co_u32_e32 v24, vcc, s16, v24
	v_addc_co_u32_e32 v25, vcc, v33, v25, vcc
	global_load_dwordx2 v[24:25], v[24:25], off
	s_add_i32 s56, s56, 1
	s_cmp_eq_u32 s29, s56
	v_add_u32_e32 v32, s29, v32
	s_waitcnt vmcnt(0)
	v_pk_fma_f32 v[20:21], v[22:23], v[24:25], v[20:21] op_sel_hi:[1,0,1]
	v_pk_fma_f32 v[20:21], v[22:23], v[24:25], v[20:21] op_sel:[1,1,0] op_sel_hi:[0,1,1] neg_lo:[1,0,0]
	s_cbranch_scc1 .LBB15_80
.LBB15_74:                              ;   Parent Loop BB15_16 Depth=1
                                        ;     Parent Loop BB15_57 Depth=2
                                        ;       Parent Loop BB15_69 Depth=3
                                        ;         Parent Loop BB15_72 Depth=4
                                        ; =>        This Inner Loop Header: Depth=5
	s_and_b64 vcc, exec, s[36:37]
	s_cbranch_vccz .LBB15_79
; %bb.75:                               ;   in Loop: Header=BB15_74 Depth=5
	v_add_u32_e32 v22, s56, v11
	v_mad_u64_u32 v[22:23], s[54:55], v22, s29, v[18:19]
	s_cbranch_execnz .LBB15_77
.LBB15_76:                              ;   in Loop: Header=BB15_74 Depth=5
	v_add_u32_e32 v22, s56, v28
.LBB15_77:                              ;   in Loop: Header=BB15_74 Depth=5
	v_ashrrev_i32_e32 v23, 31, v22
	v_lshlrev_b64 v[22:23], 3, v[22:23]
	v_mov_b32_e32 v24, s17
	v_add_co_u32_e32 v22, vcc, s16, v22
	v_addc_co_u32_e32 v23, vcc, v24, v23, vcc
	global_load_dwordx2 v[22:23], v[22:23], off
	s_andn2_b64 vcc, exec, s[36:37]
	v_mov_b32_e32 v24, v32
	s_cbranch_vccnz .LBB15_73
; %bb.78:                               ;   in Loop: Header=BB15_74 Depth=5
	v_add_u32_e32 v24, s56, v31
	s_branch .LBB15_73
.LBB15_79:                              ;   in Loop: Header=BB15_74 Depth=5
                                        ; implicit-def: $vgpr22
	s_branch .LBB15_76
.LBB15_80:                              ;   in Loop: Header=BB15_72 Depth=4
	s_and_b64 vcc, exec, s[36:37]
	s_cbranch_vccz .LBB15_82
; %bb.81:                               ;   in Loop: Header=BB15_72 Depth=4
	v_add_u32_e32 v22, s19, v19
	v_mad_u64_u32 v[22:23], s[54:55], v22, s29, v[18:19]
	s_cbranch_execnz .LBB15_71
	s_branch .LBB15_70
.LBB15_82:                              ;   in Loop: Header=BB15_72 Depth=4
                                        ; implicit-def: $vgpr22
	s_branch .LBB15_70
.LBB15_83:
	s_or_b64 exec, exec, s[38:39]
	s_and_b64 s[6:7], s[40:41], exec
.LBB15_84:
	s_or_b64 exec, exec, s[34:35]
	v_ashrrev_i32_e32 v7, 31, v6
	v_lshlrev_b64 v[10:11], 2, v[6:7]
	v_mov_b32_e32 v3, s15
	v_add_co_u32_e32 v10, vcc, s14, v10
	v_addc_co_u32_e32 v11, vcc, v3, v11, vcc
	global_load_dword v3, v[10:11], off
	s_waitcnt lgkmcnt(0)
	s_cmp_gt_i32 s29, 0
	s_cselect_b64 s[8:9], -1, 0
	s_waitcnt vmcnt(0)
	v_subrev_u32_e32 v3, s28, v3
	v_cmp_eq_u32_e32 vcc, v3, v2
	s_and_b64 s[2:3], s[8:9], vcc
	s_and_saveexec_b64 s[10:11], s[2:3]
	s_cbranch_execz .LBB15_130
; %bb.85:
	s_cmp_eq_u64 s[20:21], 8
	v_cvt_f64_f32_e32 v[10:11], v36
	s_cselect_b64 vcc, -1, 0
	s_cmp_lg_u32 s30, 0
	v_mul_lo_u32 v3, v6, s29
	v_cndmask_b32_e32 v9, v11, v9, vcc
	v_cndmask_b32_e32 v8, v10, v8, vcc
	s_cselect_b64 s[12:13], -1, 0
	v_cmp_eq_u32_e64 s[2:3], 0, v0
	v_add3_u32 v7, v3, v0, 1
	s_lshl_b32 s31, s29, 5
	s_mov_b64 s[14:15], 0
	v_mov_b32_e32 v10, 0
	v_mov_b32_e32 v11, s17
	s_mov_b32 s48, 0xf800000
	v_mov_b32_e32 v30, 0x260
	s_mov_b64 s[20:21], s[6:7]
                                        ; implicit-def: $sgpr18_sgpr19
	s_branch .LBB15_87
.LBB15_86:                              ;   in Loop: Header=BB15_87 Depth=1
	s_or_b64 exec, exec, s[4:5]
	v_cmp_eq_u32_e32 vcc, s29, v15
	s_or_b64 s[14:15], vcc, s[14:15]
	s_andn2_b64 s[4:5], s[18:19], exec
	s_and_b64 s[18:19], s[20:21], exec
	s_or_b64 s[18:19], s[4:5], s[18:19]
	v_mov_b32_e32 v10, v15
	s_andn2_b64 exec, exec, s[14:15]
	s_cbranch_execz .LBB15_129
.LBB15_87:                              ; =>This Loop Header: Depth=1
                                        ;     Child Loop BB15_103 Depth 2
                                        ;       Child Loop BB15_113 Depth 3
	v_add_u32_e32 v12, v10, v3
	v_mul_lo_u32 v31, v12, s29
	v_add_u32_e32 v12, v31, v10
	v_ashrrev_i32_e32 v13, 31, v12
	v_lshlrev_b64 v[12:13], 3, v[12:13]
	v_add_co_u32_e32 v14, vcc, s16, v12
	v_addc_co_u32_e32 v15, vcc, v11, v13, vcc
	global_load_dwordx2 v[12:13], v[14:15], off
	s_and_b64 vcc, exec, s[0:1]
	s_cbranch_vccnz .LBB15_98
; %bb.88:                               ;   in Loop: Header=BB15_87 Depth=1
	s_waitcnt vmcnt(0)
	v_cmp_gt_f32_e32 vcc, 0, v12
	v_cndmask_b32_e64 v16, v12, -v12, vcc
	v_cmp_gt_f32_e32 vcc, 0, v13
	v_cndmask_b32_e64 v17, v13, -v13, vcc
	v_cmp_ngt_f32_e32 vcc, v16, v17
                                        ; implicit-def: $vgpr18
	s_and_saveexec_b64 s[4:5], vcc
	s_xor_b64 s[34:35], exec, s[4:5]
	s_cbranch_execz .LBB15_92
; %bb.89:                               ;   in Loop: Header=BB15_87 Depth=1
	v_cmp_neq_f32_e32 vcc, 0, v13
	v_mov_b32_e32 v18, 0
	s_and_saveexec_b64 s[36:37], vcc
	s_cbranch_execz .LBB15_91
; %bb.90:                               ;   in Loop: Header=BB15_87 Depth=1
	v_div_scale_f32 v18, s[4:5], v17, v17, v16
	v_rcp_f32_e32 v19, v18
	v_div_scale_f32 v20, vcc, v16, v17, v16
	v_fma_f32 v21, -v18, v19, 1.0
	v_fmac_f32_e32 v19, v21, v19
	v_mul_f32_e32 v21, v20, v19
	v_fma_f32 v22, -v18, v21, v20
	v_fmac_f32_e32 v21, v22, v19
	v_fma_f32 v18, -v18, v21, v20
	v_div_fmas_f32 v18, v18, v19, v21
	v_div_fixup_f32 v16, v18, v17, v16
	v_fma_f32 v16, v16, v16, 1.0
	v_mul_f32_e32 v18, 0x4f800000, v16
	v_cmp_gt_f32_e32 vcc, s48, v16
	v_cndmask_b32_e32 v16, v16, v18, vcc
	v_sqrt_f32_e32 v18, v16
	v_add_u32_e32 v19, -1, v18
	v_fma_f32 v20, -v19, v18, v16
	v_cmp_ge_f32_e64 s[4:5], 0, v20
	v_add_u32_e32 v20, 1, v18
	v_cndmask_b32_e64 v19, v18, v19, s[4:5]
	v_fma_f32 v18, -v20, v18, v16
	v_cmp_lt_f32_e64 s[4:5], 0, v18
	v_cndmask_b32_e64 v18, v19, v20, s[4:5]
	v_mul_f32_e32 v19, 0x37800000, v18
	v_cndmask_b32_e32 v18, v18, v19, vcc
	v_cmp_class_f32_e32 vcc, v16, v30
	v_cndmask_b32_e32 v16, v18, v16, vcc
	v_mul_f32_e32 v18, v17, v16
.LBB15_91:                              ;   in Loop: Header=BB15_87 Depth=1
	s_or_b64 exec, exec, s[36:37]
                                        ; implicit-def: $vgpr16
                                        ; implicit-def: $vgpr17
.LBB15_92:                              ;   in Loop: Header=BB15_87 Depth=1
	s_andn2_saveexec_b64 s[34:35], s[34:35]
	s_cbranch_execz .LBB15_94
; %bb.93:                               ;   in Loop: Header=BB15_87 Depth=1
	v_div_scale_f32 v18, s[4:5], v16, v16, v17
	v_rcp_f32_e32 v19, v18
	v_div_scale_f32 v20, vcc, v17, v16, v17
	v_fma_f32 v21, -v18, v19, 1.0
	v_fmac_f32_e32 v19, v21, v19
	v_mul_f32_e32 v21, v20, v19
	v_fma_f32 v22, -v18, v21, v20
	v_fmac_f32_e32 v21, v22, v19
	v_fma_f32 v18, -v18, v21, v20
	v_div_fmas_f32 v18, v18, v19, v21
	v_div_fixup_f32 v17, v18, v16, v17
	v_fma_f32 v17, v17, v17, 1.0
	v_mul_f32_e32 v18, 0x4f800000, v17
	v_cmp_gt_f32_e32 vcc, s48, v17
	v_cndmask_b32_e32 v17, v17, v18, vcc
	v_sqrt_f32_e32 v18, v17
	v_add_u32_e32 v19, -1, v18
	v_fma_f32 v20, -v19, v18, v17
	v_cmp_ge_f32_e64 s[4:5], 0, v20
	v_add_u32_e32 v20, 1, v18
	v_cndmask_b32_e64 v19, v18, v19, s[4:5]
	v_fma_f32 v18, -v20, v18, v17
	v_cmp_lt_f32_e64 s[4:5], 0, v18
	v_cndmask_b32_e64 v18, v19, v20, s[4:5]
	v_mul_f32_e32 v19, 0x37800000, v18
	v_cndmask_b32_e32 v18, v18, v19, vcc
	v_cmp_class_f32_e32 vcc, v17, v30
	v_cndmask_b32_e32 v17, v18, v17, vcc
	v_mul_f32_e32 v18, v16, v17
.LBB15_94:                              ;   in Loop: Header=BB15_87 Depth=1
	s_or_b64 exec, exec, s[34:35]
	v_cvt_f64_f32_e32 v[16:17], v18
	v_mov_b32_e32 v18, s60
	v_cmp_ge_f64_e32 vcc, v[8:9], v[16:17]
	v_mov_b32_e32 v16, s33
	v_cndmask_b32_e32 v17, v13, v18, vcc
	v_cndmask_b32_e32 v16, v12, v16, vcc
	s_and_saveexec_b64 s[4:5], s[2:3]
	s_cbranch_execz .LBB15_96
; %bb.95:                               ;   in Loop: Header=BB15_87 Depth=1
	global_store_dwordx2 v[14:15], v[16:17], off
.LBB15_96:                              ;   in Loop: Header=BB15_87 Depth=1
	s_or_b64 exec, exec, s[4:5]
	s_mov_b64 s[36:37], -1
	s_mov_b64 s[34:35], 0
.LBB15_97:                              ;   in Loop: Header=BB15_87 Depth=1
	s_waitcnt vmcnt(0)
	v_pk_mov_b32 v[12:13], v[16:17], v[16:17] op_sel:[0,1]
                                        ; implicit-def: $sgpr4_sgpr5
                                        ; implicit-def: $vgpr15
	s_and_saveexec_b64 s[38:39], s[36:37]
	s_xor_b64 s[36:37], exec, s[38:39]
	s_cbranch_execz .LBB15_127
	s_branch .LBB15_100
.LBB15_98:                              ;   in Loop: Header=BB15_87 Depth=1
	s_mov_b64 s[36:37], 0
                                        ; implicit-def: $vgpr16_vgpr17
	s_mov_b64 s[34:35], 0
	s_cbranch_execz .LBB15_97
; %bb.99:                               ;   in Loop: Header=BB15_87 Depth=1
	s_waitcnt vmcnt(0)
	v_cmp_neq_f32_e32 vcc, 0, v12
	v_cmp_neq_f32_e64 s[4:5], 0, v13
	s_or_b64 s[4:5], vcc, s[4:5]
	s_andn2_b64 s[36:37], s[36:37], exec
	s_and_b64 s[4:5], s[4:5], exec
	s_mov_b64 s[34:35], -1
	s_or_b64 s[36:37], s[36:37], s[4:5]
                                        ; implicit-def: $sgpr4_sgpr5
                                        ; implicit-def: $vgpr15
	s_and_saveexec_b64 s[38:39], s[36:37]
	s_xor_b64 s[36:37], exec, s[38:39]
	s_cbranch_execz .LBB15_127
.LBB15_100:                             ;   in Loop: Header=BB15_87 Depth=1
	v_add_u32_e32 v15, 1, v10
	v_add_u32_e32 v14, v15, v0
	v_cmp_gt_i32_e32 vcc, s29, v14
	s_and_saveexec_b64 s[38:39], vcc
	s_cbranch_execz .LBB15_126
; %bb.101:                              ;   in Loop: Header=BB15_87 Depth=1
	v_mul_f32_e32 v16, v13, v13
	v_fmac_f32_e32 v16, v12, v12
	v_div_scale_f32 v17, s[4:5], v16, v16, 1.0
	v_rcp_f32_e32 v18, v17
	v_div_scale_f32 v19, vcc, 1.0, v16, 1.0
	v_cmp_gt_i32_e64 s[4:5], s29, v15
	v_fma_f32 v20, -v17, v18, 1.0
	v_fmac_f32_e32 v18, v20, v18
	v_mul_f32_e32 v20, v19, v18
	v_fma_f32 v21, -v17, v20, v19
	v_fmac_f32_e32 v20, v21, v18
	v_fma_f32 v17, -v17, v20, v19
	v_div_fmas_f32 v17, v17, v18, v20
	v_div_fixup_f32 v16, v17, v16, 1.0
	v_add_u32_e32 v20, v7, v10
	v_mov_b32_e32 v17, v16
	v_mov_b32_e32 v18, v12
	;; [unrolled: 1-line block ×4, first 2 shown]
	v_mul_lo_u32 v32, s29, v20
	s_mov_b64 s[40:41], 0
	s_branch .LBB15_103
.LBB15_102:                             ;   in Loop: Header=BB15_103 Depth=2
	s_or_b64 exec, exec, s[42:43]
	v_add_u32_e32 v14, 32, v14
	v_cmp_le_i32_e32 vcc, s29, v14
	s_or_b64 s[40:41], vcc, s[40:41]
	v_add_u32_e32 v32, s31, v32
	s_andn2_b64 exec, exec, s[40:41]
	s_cbranch_execz .LBB15_126
.LBB15_103:                             ;   Parent Loop BB15_87 Depth=1
                                        ; =>  This Loop Header: Depth=2
                                        ;       Child Loop BB15_113 Depth 3
	s_and_b64 vcc, exec, s[12:13]
	v_add_u32_e32 v22, v14, v31
	s_cbranch_vccz .LBB15_124
; %bb.104:                              ;   in Loop: Header=BB15_103 Depth=2
	v_add_u32_e32 v20, v14, v31
	s_cbranch_execnz .LBB15_106
.LBB15_105:                             ;   in Loop: Header=BB15_103 Depth=2
	v_add_u32_e32 v20, v14, v3
	v_mad_u64_u32 v[20:21], s[42:43], v20, s29, v[10:11]
.LBB15_106:                             ;   in Loop: Header=BB15_103 Depth=2
	v_ashrrev_i32_e32 v21, 31, v20
	v_lshlrev_b64 v[20:21], 3, v[20:21]
	v_mov_b32_e32 v23, s17
	v_add_co_u32_e32 v20, vcc, s16, v20
	v_addc_co_u32_e32 v21, vcc, v23, v21, vcc
	global_load_dwordx2 v[20:21], v[20:21], off
	s_and_b64 vcc, exec, s[12:13]
	s_cbranch_vccz .LBB15_125
; %bb.107:                              ;   in Loop: Header=BB15_103 Depth=2
	s_cbranch_execnz .LBB15_109
.LBB15_108:                             ;   in Loop: Header=BB15_103 Depth=2
	v_add_u32_e32 v22, v14, v3
	v_mad_u64_u32 v[22:23], s[42:43], v22, s29, v[10:11]
.LBB15_109:                             ;   in Loop: Header=BB15_103 Depth=2
	v_ashrrev_i32_e32 v23, 31, v22
	s_waitcnt vmcnt(0)
	v_pk_mul_f32 v[24:25], v[12:13], v[20:21] op_sel:[0,1] op_sel_hi:[1,0] neg_hi:[0,1]
	v_lshlrev_b64 v[22:23], 3, v[22:23]
	v_pk_fma_f32 v[20:21], v[20:21], v[18:19], v[24:25]
	v_mov_b32_e32 v24, s17
	v_add_co_u32_e32 v22, vcc, s16, v22
	v_pk_mul_f32 v[20:21], v[16:17], v[20:21]
	v_addc_co_u32_e32 v23, vcc, v24, v23, vcc
	global_store_dwordx2 v[22:23], v[20:21], off
	s_and_saveexec_b64 s[42:43], s[4:5]
	s_cbranch_execz .LBB15_102
; %bb.110:                              ;   in Loop: Header=BB15_103 Depth=2
	v_xor_b32_e32 v23, 0x80000000, v20
	v_mov_b32_e32 v22, v21
	s_mov_b64 s[44:45], 0
	v_mov_b32_e32 v33, v15
	s_branch .LBB15_113
.LBB15_111:                             ;   in Loop: Header=BB15_113 Depth=3
	v_add_u32_e32 v28, v32, v33
.LBB15_112:                             ;   in Loop: Header=BB15_113 Depth=3
	s_waitcnt vmcnt(0)
	v_pk_fma_f32 v[26:27], v[20:21], v[24:25], v[26:27] op_sel_hi:[1,0,1] neg_lo:[1,0,0] neg_hi:[1,0,0]
	v_ashrrev_i32_e32 v29, 31, v28
	v_pk_fma_f32 v[24:25], v[22:23], v[24:25], v[26:27] op_sel:[0,1,0]
	v_lshlrev_b64 v[26:27], 3, v[28:29]
	v_mov_b32_e32 v28, s17
	v_add_co_u32_e32 v26, vcc, s16, v26
	v_addc_co_u32_e32 v27, vcc, v28, v27, vcc
	v_add_u32_e32 v33, 1, v33
	v_cmp_le_i32_e32 vcc, s29, v33
	s_or_b64 s[44:45], vcc, s[44:45]
	global_store_dwordx2 v[26:27], v[24:25], off
	s_andn2_b64 exec, exec, s[44:45]
	s_cbranch_execz .LBB15_102
.LBB15_113:                             ;   Parent Loop BB15_87 Depth=1
                                        ;     Parent Loop BB15_103 Depth=2
                                        ; =>    This Inner Loop Header: Depth=3
	s_and_b64 vcc, exec, s[12:13]
	v_add_u32_e32 v28, v33, v3
	s_cbranch_vccz .LBB15_121
; %bb.114:                              ;   in Loop: Header=BB15_113 Depth=3
	v_mad_u64_u32 v[24:25], s[46:47], v28, s29, v[10:11]
	s_cbranch_execnz .LBB15_116
.LBB15_115:                             ;   in Loop: Header=BB15_113 Depth=3
	v_add_u32_e32 v24, v31, v33
.LBB15_116:                             ;   in Loop: Header=BB15_113 Depth=3
	v_ashrrev_i32_e32 v25, 31, v24
	v_lshlrev_b64 v[24:25], 3, v[24:25]
	v_mov_b32_e32 v26, s17
	v_add_co_u32_e32 v24, vcc, s16, v24
	v_addc_co_u32_e32 v25, vcc, v26, v25, vcc
	global_load_dwordx2 v[24:25], v[24:25], off
	s_and_b64 vcc, exec, s[12:13]
	s_cbranch_vccz .LBB15_122
; %bb.117:                              ;   in Loop: Header=BB15_113 Depth=3
	v_mad_u64_u32 v[26:27], s[46:47], v28, s29, v[14:15]
	s_cbranch_execnz .LBB15_119
.LBB15_118:                             ;   in Loop: Header=BB15_113 Depth=3
	v_add_u32_e32 v26, v32, v33
.LBB15_119:                             ;   in Loop: Header=BB15_113 Depth=3
	v_ashrrev_i32_e32 v27, 31, v26
	v_lshlrev_b64 v[26:27], 3, v[26:27]
	v_mov_b32_e32 v29, s17
	v_add_co_u32_e32 v26, vcc, s16, v26
	v_addc_co_u32_e32 v27, vcc, v29, v27, vcc
	global_load_dwordx2 v[26:27], v[26:27], off
	s_and_b64 vcc, exec, s[12:13]
	s_cbranch_vccz .LBB15_123
; %bb.120:                              ;   in Loop: Header=BB15_113 Depth=3
	v_mad_u64_u32 v[28:29], s[46:47], v28, s29, v[14:15]
	s_cbranch_execnz .LBB15_112
	s_branch .LBB15_111
.LBB15_121:                             ;   in Loop: Header=BB15_113 Depth=3
                                        ; implicit-def: $vgpr24
	s_branch .LBB15_115
.LBB15_122:                             ;   in Loop: Header=BB15_113 Depth=3
                                        ; implicit-def: $vgpr26
	s_branch .LBB15_118
.LBB15_123:                             ;   in Loop: Header=BB15_113 Depth=3
                                        ; implicit-def: $vgpr28
	s_branch .LBB15_111
.LBB15_124:                             ;   in Loop: Header=BB15_103 Depth=2
                                        ; implicit-def: $vgpr20
	s_branch .LBB15_105
.LBB15_125:                             ;   in Loop: Header=BB15_103 Depth=2
                                        ; implicit-def: $vgpr22
	s_branch .LBB15_108
.LBB15_126:                             ;   in Loop: Header=BB15_87 Depth=1
	s_or_b64 exec, exec, s[38:39]
	s_and_b64 s[4:5], s[20:21], exec
	s_andn2_b64 s[34:35], s[34:35], exec
.LBB15_127:                             ;   in Loop: Header=BB15_87 Depth=1
	s_or_b64 exec, exec, s[36:37]
	s_andn2_b64 s[20:21], s[20:21], exec
	s_and_b64 s[4:5], s[4:5], exec
	s_or_b64 s[20:21], s[20:21], s[4:5]
	s_and_saveexec_b64 s[4:5], s[34:35]
	s_cbranch_execz .LBB15_86
; %bb.128:                              ;   in Loop: Header=BB15_87 Depth=1
	v_add_u32_e32 v15, 1, v10
	s_or_b64 s[20:21], s[20:21], exec
	s_branch .LBB15_86
.LBB15_129:
	s_or_b64 exec, exec, s[14:15]
	s_andn2_b64 s[0:1], s[6:7], exec
	s_and_b64 s[2:3], s[18:19], exec
	s_or_b64 s[6:7], s[0:1], s[2:3]
.LBB15_130:
	s_or_b64 exec, exec, s[10:11]
	v_add_u32_e32 v3, 1, v6
	v_cmp_lt_i32_e32 vcc, v3, v1
	s_and_saveexec_b64 s[10:11], vcc
	s_cbranch_execz .LBB15_154
; %bb.131:
	v_mul_lo_u32 v14, v6, s29
	v_mul_lo_u32 v6, s29, v14
	s_mul_i32 s31, s29, s29
	v_add_u32_e32 v15, s29, v6
	v_mul_lo_u32 v6, s31, v3
	s_cmp_lg_u32 s30, 0
	v_add3_u32 v16, v6, s29, v0
	v_cndmask_b32_e64 v6, 0, 1, s[8:9]
	v_cmp_gt_i32_e64 s[0:1], s29, v0
	s_cselect_b64 s[12:13], -1, 0
	s_add_i32 s30, s29, 1
	s_mov_b64 s[14:15], 0
	v_cmp_ne_u32_e64 s[2:3], 1, v6
	s_branch .LBB15_133
.LBB15_132:                             ;   in Loop: Header=BB15_133 Depth=1
	v_add_u32_e32 v3, 1, v3
	v_cmp_ge_i32_e32 vcc, v3, v1
	s_or_b64 s[14:15], vcc, s[14:15]
	v_add_u32_e32 v16, s31, v16
	s_andn2_b64 exec, exec, s[14:15]
	s_cbranch_execz .LBB15_154
.LBB15_133:                             ; =>This Loop Header: Depth=1
                                        ;     Child Loop BB15_136 Depth 2
                                        ;       Child Loop BB15_139 Depth 3
                                        ;         Child Loop BB15_143 Depth 4
	s_and_b64 vcc, exec, s[2:3]
	s_cbranch_vccnz .LBB15_132
; %bb.134:                              ;   in Loop: Header=BB15_133 Depth=1
	v_mul_lo_u32 v17, v3, s29
	s_mov_b32 s33, 0
	v_mov_b32_e32 v18, v16
	v_mov_b32_e32 v19, v15
	s_branch .LBB15_136
.LBB15_135:                             ;   in Loop: Header=BB15_136 Depth=2
	s_or_b64 exec, exec, s[8:9]
	v_add_u32_e32 v19, s30, v19
	v_add_u32_e32 v18, s29, v18
	s_cmp_eq_u32 s34, s29
	s_mov_b32 s33, s34
	s_cbranch_scc1 .LBB15_132
.LBB15_136:                             ;   Parent Loop BB15_133 Depth=1
                                        ; =>  This Loop Header: Depth=2
                                        ;       Child Loop BB15_139 Depth 3
                                        ;         Child Loop BB15_143 Depth 4
	s_add_i32 s34, s33, 1
	s_and_saveexec_b64 s[8:9], s[0:1]
	s_cbranch_execz .LBB15_135
; %bb.137:                              ;   in Loop: Header=BB15_136 Depth=2
	s_cmp_lt_i32 s34, s29
	v_add_u32_e32 v6, s33, v14
	v_mul_lo_u32 v20, v6, s29
	v_add_u32_e32 v6, s33, v17
	s_cselect_b64 s[4:5], -1, 0
	v_mul_lo_u32 v21, v6, s29
	v_cndmask_b32_e64 v6, 0, 1, s[4:5]
	s_mov_b64 s[18:19], 0
	v_cmp_ne_u32_e64 s[4:5], 1, v6
	v_mov_b32_e32 v22, v18
	v_mov_b32_e32 v23, v0
	s_branch .LBB15_139
.LBB15_138:                             ;   in Loop: Header=BB15_139 Depth=3
	v_add_u32_e32 v23, 32, v23
	v_cmp_le_i32_e32 vcc, s29, v23
	s_or_b64 s[18:19], vcc, s[18:19]
	v_add_u32_e32 v22, 32, v22
	s_andn2_b64 exec, exec, s[18:19]
	s_cbranch_execz .LBB15_135
.LBB15_139:                             ;   Parent Loop BB15_133 Depth=1
                                        ;     Parent Loop BB15_136 Depth=2
                                        ; =>    This Loop Header: Depth=3
                                        ;         Child Loop BB15_143 Depth 4
	s_and_b64 vcc, exec, s[4:5]
	s_cbranch_vccnz .LBB15_138
; %bb.140:                              ;   in Loop: Header=BB15_139 Depth=3
	v_add_u32_e32 v6, v23, v17
	v_mul_lo_u32 v24, v6, s29
	v_add_u32_e32 v25, s33, v24
	v_add_u32_e32 v26, v23, v21
	s_mov_b32 s35, 0
	s_mov_b32 s36, s34
	s_branch .LBB15_143
.LBB15_141:                             ;   in Loop: Header=BB15_143 Depth=4
	v_mov_b32_e32 v10, v11
.LBB15_142:                             ;   in Loop: Header=BB15_143 Depth=4
	s_waitcnt vmcnt(0)
	v_pk_fma_f32 v[12:13], v[6:7], v[8:9], v[12:13] op_sel_hi:[1,0,1] neg_lo:[1,0,0] neg_hi:[1,0,0]
	v_ashrrev_i32_e32 v11, 31, v10
	v_pk_fma_f32 v[6:7], v[6:7], v[8:9], v[12:13] op_sel:[1,1,0] op_sel_hi:[0,1,1] neg_hi:[1,0,0]
	v_lshlrev_b64 v[8:9], 3, v[10:11]
	v_mov_b32_e32 v10, s17
	v_add_co_u32_e32 v8, vcc, s16, v8
	s_add_i32 s36, s36, 1
	s_add_i32 s35, s35, s29
	v_addc_co_u32_e32 v9, vcc, v10, v9, vcc
	s_cmp_ge_i32 s36, s29
	global_store_dwordx2 v[8:9], v[6:7], off
	s_cbranch_scc1 .LBB15_138
.LBB15_143:                             ;   Parent Loop BB15_133 Depth=1
                                        ;     Parent Loop BB15_136 Depth=2
                                        ;       Parent Loop BB15_139 Depth=3
                                        ; =>      This Inner Loop Header: Depth=4
	s_and_b64 vcc, exec, s[12:13]
	s_cbranch_vccz .LBB15_151
; %bb.144:                              ;   in Loop: Header=BB15_143 Depth=4
	v_add_u32_e32 v6, s36, v20
	v_mov_b32_e32 v8, v25
	s_cbranch_execnz .LBB15_146
.LBB15_145:                             ;   in Loop: Header=BB15_143 Depth=4
	v_add_u32_e32 v6, s35, v19
	v_mov_b32_e32 v8, v26
.LBB15_146:                             ;   in Loop: Header=BB15_143 Depth=4
	v_ashrrev_i32_e32 v7, 31, v6
	v_lshlrev_b64 v[6:7], 3, v[6:7]
	v_mov_b32_e32 v9, s17
	v_add_co_u32_e32 v10, vcc, s16, v6
	v_addc_co_u32_e32 v11, vcc, v9, v7, vcc
	v_ashrrev_i32_e32 v9, 31, v8
	v_lshlrev_b64 v[6:7], 3, v[8:9]
	v_mov_b32_e32 v8, s17
	v_add_co_u32_e32 v12, vcc, s16, v6
	v_addc_co_u32_e32 v13, vcc, v8, v7, vcc
	global_load_dwordx2 v[6:7], v[10:11], off
	global_load_dwordx2 v[8:9], v[12:13], off
	s_and_b64 vcc, exec, s[12:13]
	v_add_u32_e32 v10, s36, v24
	s_cbranch_vccz .LBB15_152
; %bb.147:                              ;   in Loop: Header=BB15_143 Depth=4
	v_add_u32_e32 v12, s36, v24
	v_add_u32_e32 v11, s35, v22
	s_cbranch_execnz .LBB15_149
.LBB15_148:                             ;   in Loop: Header=BB15_143 Depth=4
	v_add_u32_e32 v12, s35, v22
.LBB15_149:                             ;   in Loop: Header=BB15_143 Depth=4
	v_ashrrev_i32_e32 v13, 31, v12
	v_lshlrev_b64 v[12:13], 3, v[12:13]
	v_mov_b32_e32 v27, s17
	v_add_co_u32_e32 v12, vcc, s16, v12
	v_addc_co_u32_e32 v13, vcc, v27, v13, vcc
	global_load_dwordx2 v[12:13], v[12:13], off
	s_and_b64 vcc, exec, s[12:13]
	s_cbranch_vccz .LBB15_153
; %bb.150:                              ;   in Loop: Header=BB15_143 Depth=4
	s_cbranch_execnz .LBB15_142
	s_branch .LBB15_141
.LBB15_151:                             ;   in Loop: Header=BB15_143 Depth=4
                                        ; implicit-def: $vgpr6
	v_mov_b32_e32 v8, v25
	s_branch .LBB15_145
.LBB15_152:                             ;   in Loop: Header=BB15_143 Depth=4
                                        ; implicit-def: $vgpr12
	v_add_u32_e32 v11, s35, v22
	s_branch .LBB15_148
.LBB15_153:                             ;   in Loop: Header=BB15_143 Depth=4
                                        ; implicit-def: $vgpr10
	s_branch .LBB15_141
.LBB15_154:
	s_or_b64 exec, exec, s[10:11]
	s_orn2_b64 s[2:3], s[6:7], exec
.LBB15_155:
	s_or_b64 exec, exec, s[26:27]
	v_cmp_eq_u32_e32 vcc, 0, v0
	s_and_b64 exec, exec, vcc
	s_cbranch_execz .LBB15_161
; %bb.156:
	v_mov_b32_e32 v1, s25
	v_add_co_u32_e32 v0, vcc, s24, v4
	v_addc_co_u32_e32 v1, vcc, v1, v5, vcc
	v_mov_b32_e32 v3, 1
	s_waitcnt vmcnt(0)
	global_store_dword v[0:1], v3, off
	s_and_b64 exec, exec, s[2:3]
	s_cbranch_execz .LBB15_161
; %bb.157:
	s_mov_b64 s[0:1], exec
	v_add_u32_e32 v0, s28, v2
	s_brev_b32 s2, -2
.LBB15_158:                             ; =>This Inner Loop Header: Depth=1
	s_ff1_i32_b64 s3, s[0:1]
	v_readlane_b32 s6, v0, s3
	s_lshl_b64 s[4:5], 1, s3
	s_min_i32 s2, s2, s6
	s_andn2_b64 s[0:1], s[0:1], s[4:5]
	s_cmp_lg_u64 s[0:1], 0
	s_cbranch_scc1 .LBB15_158
; %bb.159:
	v_mbcnt_lo_u32_b32 v0, exec_lo, 0
	v_mbcnt_hi_u32_b32 v0, exec_hi, v0
	v_cmp_eq_u32_e32 vcc, 0, v0
	s_and_saveexec_b64 s[0:1], vcc
	s_xor_b64 s[0:1], exec, s[0:1]
	s_cbranch_execz .LBB15_161
; %bb.160:
	v_mov_b32_e32 v0, 0
	v_mov_b32_e32 v1, s2
	global_atomic_smin v0, v1, s[22:23]
.LBB15_161:
	s_endpgm
	.section	.rodata,"a",@progbits
	.p2align	6, 0x0
	.amdhsa_kernel _ZN9rocsparseL15bsrilu0_generalILj128ELj32ELb0E21rocsparse_complex_numIfEEEv20rocsparse_direction_iPKiS5_PT2_S5_iPiS5_S8_21rocsparse_index_base_imNS_24const_host_device_scalarIfEENSA_IdEENSA_IS6_EEb
		.amdhsa_group_segment_fixed_size 0
		.amdhsa_private_segment_fixed_size 0
		.amdhsa_kernarg_size 116
		.amdhsa_user_sgpr_count 6
		.amdhsa_user_sgpr_private_segment_buffer 1
		.amdhsa_user_sgpr_dispatch_ptr 0
		.amdhsa_user_sgpr_queue_ptr 0
		.amdhsa_user_sgpr_kernarg_segment_ptr 1
		.amdhsa_user_sgpr_dispatch_id 0
		.amdhsa_user_sgpr_flat_scratch_init 0
		.amdhsa_user_sgpr_kernarg_preload_length 0
		.amdhsa_user_sgpr_kernarg_preload_offset 0
		.amdhsa_user_sgpr_private_segment_size 0
		.amdhsa_uses_dynamic_stack 0
		.amdhsa_system_sgpr_private_segment_wavefront_offset 0
		.amdhsa_system_sgpr_workgroup_id_x 1
		.amdhsa_system_sgpr_workgroup_id_y 0
		.amdhsa_system_sgpr_workgroup_id_z 0
		.amdhsa_system_sgpr_workgroup_info 0
		.amdhsa_system_vgpr_workitem_id 0
		.amdhsa_next_free_vgpr 45
		.amdhsa_next_free_sgpr 67
		.amdhsa_accum_offset 48
		.amdhsa_reserve_vcc 1
		.amdhsa_reserve_flat_scratch 0
		.amdhsa_float_round_mode_32 0
		.amdhsa_float_round_mode_16_64 0
		.amdhsa_float_denorm_mode_32 3
		.amdhsa_float_denorm_mode_16_64 3
		.amdhsa_dx10_clamp 1
		.amdhsa_ieee_mode 1
		.amdhsa_fp16_overflow 0
		.amdhsa_tg_split 0
		.amdhsa_exception_fp_ieee_invalid_op 0
		.amdhsa_exception_fp_denorm_src 0
		.amdhsa_exception_fp_ieee_div_zero 0
		.amdhsa_exception_fp_ieee_overflow 0
		.amdhsa_exception_fp_ieee_underflow 0
		.amdhsa_exception_fp_ieee_inexact 0
		.amdhsa_exception_int_div_zero 0
	.end_amdhsa_kernel
	.section	.text._ZN9rocsparseL15bsrilu0_generalILj128ELj32ELb0E21rocsparse_complex_numIfEEEv20rocsparse_direction_iPKiS5_PT2_S5_iPiS5_S8_21rocsparse_index_base_imNS_24const_host_device_scalarIfEENSA_IdEENSA_IS6_EEb,"axG",@progbits,_ZN9rocsparseL15bsrilu0_generalILj128ELj32ELb0E21rocsparse_complex_numIfEEEv20rocsparse_direction_iPKiS5_PT2_S5_iPiS5_S8_21rocsparse_index_base_imNS_24const_host_device_scalarIfEENSA_IdEENSA_IS6_EEb,comdat
.Lfunc_end15:
	.size	_ZN9rocsparseL15bsrilu0_generalILj128ELj32ELb0E21rocsparse_complex_numIfEEEv20rocsparse_direction_iPKiS5_PT2_S5_iPiS5_S8_21rocsparse_index_base_imNS_24const_host_device_scalarIfEENSA_IdEENSA_IS6_EEb, .Lfunc_end15-_ZN9rocsparseL15bsrilu0_generalILj128ELj32ELb0E21rocsparse_complex_numIfEEEv20rocsparse_direction_iPKiS5_PT2_S5_iPiS5_S8_21rocsparse_index_base_imNS_24const_host_device_scalarIfEENSA_IdEENSA_IS6_EEb
                                        ; -- End function
	.section	.AMDGPU.csdata,"",@progbits
; Kernel info:
; codeLenInByte = 4528
; NumSgprs: 71
; NumVgprs: 45
; NumAgprs: 0
; TotalNumVgprs: 45
; ScratchSize: 0
; MemoryBound: 0
; FloatMode: 240
; IeeeMode: 1
; LDSByteSize: 0 bytes/workgroup (compile time only)
; SGPRBlocks: 8
; VGPRBlocks: 5
; NumSGPRsForWavesPerEU: 71
; NumVGPRsForWavesPerEU: 45
; AccumOffset: 48
; Occupancy: 8
; WaveLimiterHint : 1
; COMPUTE_PGM_RSRC2:SCRATCH_EN: 0
; COMPUTE_PGM_RSRC2:USER_SGPR: 6
; COMPUTE_PGM_RSRC2:TRAP_HANDLER: 0
; COMPUTE_PGM_RSRC2:TGID_X_EN: 1
; COMPUTE_PGM_RSRC2:TGID_Y_EN: 0
; COMPUTE_PGM_RSRC2:TGID_Z_EN: 0
; COMPUTE_PGM_RSRC2:TIDIG_COMP_CNT: 0
; COMPUTE_PGM_RSRC3_GFX90A:ACCUM_OFFSET: 11
; COMPUTE_PGM_RSRC3_GFX90A:TG_SPLIT: 0
	.section	.text._ZN9rocsparseL11bsrilu0_2_8ILj64ELj64ELj8E21rocsparse_complex_numIfEEEv20rocsparse_direction_iPKiS5_PT2_S5_iPiS5_S8_21rocsparse_index_base_imNS_24const_host_device_scalarIfEENSA_IdEENSA_IS6_EEb,"axG",@progbits,_ZN9rocsparseL11bsrilu0_2_8ILj64ELj64ELj8E21rocsparse_complex_numIfEEEv20rocsparse_direction_iPKiS5_PT2_S5_iPiS5_S8_21rocsparse_index_base_imNS_24const_host_device_scalarIfEENSA_IdEENSA_IS6_EEb,comdat
	.globl	_ZN9rocsparseL11bsrilu0_2_8ILj64ELj64ELj8E21rocsparse_complex_numIfEEEv20rocsparse_direction_iPKiS5_PT2_S5_iPiS5_S8_21rocsparse_index_base_imNS_24const_host_device_scalarIfEENSA_IdEENSA_IS6_EEb ; -- Begin function _ZN9rocsparseL11bsrilu0_2_8ILj64ELj64ELj8E21rocsparse_complex_numIfEEEv20rocsparse_direction_iPKiS5_PT2_S5_iPiS5_S8_21rocsparse_index_base_imNS_24const_host_device_scalarIfEENSA_IdEENSA_IS6_EEb
	.p2align	8
	.type	_ZN9rocsparseL11bsrilu0_2_8ILj64ELj64ELj8E21rocsparse_complex_numIfEEEv20rocsparse_direction_iPKiS5_PT2_S5_iPiS5_S8_21rocsparse_index_base_imNS_24const_host_device_scalarIfEENSA_IdEENSA_IS6_EEb,@function
_ZN9rocsparseL11bsrilu0_2_8ILj64ELj64ELj8E21rocsparse_complex_numIfEEEv20rocsparse_direction_iPKiS5_PT2_S5_iPiS5_S8_21rocsparse_index_base_imNS_24const_host_device_scalarIfEENSA_IdEENSA_IS6_EEb: ; @_ZN9rocsparseL11bsrilu0_2_8ILj64ELj64ELj8E21rocsparse_complex_numIfEEEv20rocsparse_direction_iPKiS5_PT2_S5_iPiS5_S8_21rocsparse_index_base_imNS_24const_host_device_scalarIfEENSA_IdEENSA_IS6_EEb
; %bb.0:
	s_load_dword s0, s[4:5], 0x70
	s_load_dwordx2 s[28:29], s[4:5], 0x48
	s_load_dwordx8 s[20:27], s[4:5], 0x50
	s_waitcnt lgkmcnt(0)
	s_bitcmp1_b32 s0, 0
	s_cselect_b64 s[2:3], -1, 0
	s_cmp_lg_u32 s29, 0
	s_cselect_b64 s[8:9], -1, 0
	s_cmp_eq_u32 s29, 0
	s_cselect_b64 s[12:13], -1, 0
	s_and_b64 s[0:1], s[12:13], exec
	s_cselect_b32 s10, 0, s24
	s_cselect_b32 s11, 0, s25
	s_or_b64 s[14:15], s[12:13], s[2:3]
	s_xor_b64 s[0:1], s[14:15], -1
	s_and_b64 vcc, exec, s[14:15]
	s_cbranch_vccnz .LBB16_2
; %bb.1:
	s_load_dword s7, s[22:23], 0x0
	s_mov_b64 s[10:11], s[24:25]
	s_waitcnt lgkmcnt(0)
	v_mov_b32_e32 v1, s7
	s_andn2_b64 vcc, exec, s[0:1]
	v_pk_mov_b32 v[2:3], s[10:11], s[10:11] op_sel:[0,1]
	s_cbranch_vccz .LBB16_3
	s_branch .LBB16_4
.LBB16_2:
	v_mov_b32_e32 v1, s22
	v_cndmask_b32_e64 v1, v1, 0, s[12:13]
	s_andn2_b64 vcc, exec, s[0:1]
	v_pk_mov_b32 v[2:3], s[10:11], s[10:11] op_sel:[0,1]
	s_cbranch_vccnz .LBB16_4
.LBB16_3:
	v_pk_mov_b32 v[2:3], s[24:25], s[24:25] op_sel:[0,1]
	flat_load_dwordx2 v[2:3], v[2:3]
.LBB16_4:
	v_cndmask_b32_e64 v4, 0, 1, s[8:9]
	s_mov_b32 s56, 0
	v_cmp_ne_u32_e64 s[0:1], 1, v4
	s_andn2_b64 vcc, exec, s[8:9]
	s_mov_b32 s33, 0
	s_cbranch_vccnz .LBB16_10
; %bb.5:
	s_xor_b64 s[8:9], s[2:3], -1
	v_cndmask_b32_e64 v4, 0, 1, s[8:9]
	v_cmp_ne_u32_e64 s[2:3], 1, v4
	s_andn2_b64 vcc, exec, s[8:9]
	s_mov_b32 s33, s26
	s_cbranch_vccnz .LBB16_7
; %bb.6:
	s_load_dword s33, s[26:27], 0x0
.LBB16_7:
	s_and_b64 vcc, exec, s[2:3]
	s_cbranch_vccnz .LBB16_9
; %bb.8:
	s_load_dword s27, s[26:27], 0x4
.LBB16_9:
	s_waitcnt lgkmcnt(0)
	s_mov_b32 s56, s27
.LBB16_10:
	s_load_dwordx4 s[24:27], s[4:5], 0x30
	s_load_dwordx2 s[22:23], s[4:5], 0x40
	s_mov_b32 s7, 0
	s_lshl_b64 s[2:3], s[6:7], 2
	s_waitcnt lgkmcnt(0)
	s_add_u32 s2, s26, s2
	s_addc_u32 s3, s27, s3
	s_load_dword s26, s[2:3], 0x0
	s_load_dwordx8 s[12:19], s[4:5], 0x8
	s_waitcnt lgkmcnt(0)
	s_ashr_i32 s27, s26, 31
	s_lshl_b64 s[30:31], s[26:27], 2
	s_add_u32 s2, s18, s30
	s_addc_u32 s3, s19, s31
	s_load_dword s36, s[2:3], 0x0
	s_waitcnt lgkmcnt(0)
	s_cmp_eq_u32 s36, -1
	s_cbranch_scc1 .LBB16_90
; %bb.11:
	s_add_u32 s2, s12, s30
	s_addc_u32 s3, s13, s31
	s_load_dwordx2 s[6:7], s[2:3], 0x0
	s_load_dwordx2 s[38:39], s[4:5], 0x0
	s_load_dword s27, s[4:5], 0x28
	s_mov_b64 s[34:35], 0
	s_waitcnt lgkmcnt(0)
	s_sub_i32 s40, s6, s28
	s_sub_i32 s29, s7, s28
	s_cmp_ge_i32 s40, s36
	s_cbranch_scc1 .LBB16_62
; %bb.12:
	s_cmp_eq_u32 s38, 0
	s_cselect_b64 vcc, -1, 0
	s_cmp_gt_i32 s27, 0
	s_cselect_b64 s[42:43], -1, 0
	s_add_u32 s4, s4, 0x78
	s_addc_u32 s5, s5, 0
	s_add_i32 s37, s39, 1
	s_cmp_lg_u32 s27, 1
	s_cselect_b64 s[44:45], -1, 0
	s_and_b32 s39, s27, 0x7ffffffe
	v_bfe_u32 v7, v0, 10, 10
	s_bitcmp1_b32 s27, 0
	v_and_b32_e32 v5, 0x3ff, v0
	s_cselect_b64 s[46:47], -1, 0
	s_add_u32 s57, s12, 4
	v_mul_u32_u24_e32 v9, 9, v7
	v_lshlrev_b32_e32 v8, 3, v5
	s_movk_i32 s2, 0x48
	s_addc_u32 s58, s13, 0
	v_lshlrev_b32_e32 v20, 3, v9
	v_mad_u32_u24 v16, v7, s2, v8
	v_max_u32_e32 v4, v5, v7
	s_add_u32 s59, s14, 0x100
	v_add_u32_e32 v9, v20, v8
	v_add_u32_e32 v23, 0x240, v8
	v_mbcnt_lo_u32_b32 v8, -1, 0
	v_add_u32_e32 v17, 0x240, v16
	v_mul_u32_u24_e32 v18, 0x48, v7
	v_cmp_gt_u32_e64 s[2:3], s27, v4
	v_cmp_eq_u32_e64 s[10:11], 0, v7
	v_add_u32_e32 v19, s40, v5
	v_cndmask_b32_e32 v4, v7, v5, vcc
	v_cndmask_b32_e32 v6, v5, v7, vcc
	s_addc_u32 s60, s15, 0
	v_add_u32_e32 v21, 0x2d0, v9
	v_add_u32_e32 v22, 0x288, v9
	;; [unrolled: 1-line block ×4, first 2 shown]
	v_mov_b32_e32 v26, 0
	v_cndmask_b32_e64 v27, 0, 1, s[42:43]
	v_mbcnt_hi_u32_b32 v28, -1, v8
	s_branch .LBB16_15
.LBB16_13:                              ;   in Loop: Header=BB16_15 Depth=1
	s_mov_b64 s[34:35], -1
.LBB16_14:                              ;   in Loop: Header=BB16_15 Depth=1
	s_add_i32 s40, s40, 1
	s_cmp_lt_i32 s40, s36
	s_cselect_b64 s[6:7], -1, 0
	s_and_b64 s[6:7], s[12:13], s[6:7]
	s_and_b64 vcc, exec, s[6:7]
	s_cbranch_vccz .LBB16_62
.LBB16_15:                              ; =>This Loop Header: Depth=1
                                        ;     Child Loop BB16_19 Depth 2
                                        ;     Child Loop BB16_26 Depth 2
	;; [unrolled: 1-line block ×3, first 2 shown]
                                        ;       Child Loop BB16_51 Depth 3
                                        ;       Child Loop BB16_59 Depth 3
	s_ashr_i32 s41, s40, 31
	s_lshl_b64 s[6:7], s[40:41], 2
	s_add_u32 s6, s14, s6
	s_addc_u32 s7, s15, s7
	global_load_dword v9, v26, s[6:7]
	v_mov_b32_e32 v8, 0
	s_waitcnt vmcnt(0)
	v_readfirstlane_b32 s8, v9
	v_mov_b32_e32 v9, 0
	s_and_saveexec_b64 s[6:7], s[2:3]
	s_cbranch_execz .LBB16_17
; %bb.16:                               ;   in Loop: Header=BB16_15 Depth=1
	s_mul_i32 s9, s40, s27
	v_add_u32_e32 v8, s9, v4
	v_mad_u64_u32 v[8:9], s[12:13], v8, s27, v[6:7]
	v_mov_b32_e32 v9, v26
	v_lshlrev_b64 v[8:9], 3, v[8:9]
	v_mov_b32_e32 v10, s17
	v_add_co_u32_e32 v8, vcc, s16, v8
	v_addc_co_u32_e32 v9, vcc, v10, v9, vcc
	global_load_dwordx2 v[8:9], v[8:9], off
.LBB16_17:                              ;   in Loop: Header=BB16_15 Depth=1
	s_or_b64 exec, exec, s[6:7]
	s_sub_i32 s6, s8, s28
	s_ashr_i32 s7, s6, 31
	s_lshl_b64 s[6:7], s[6:7], 2
	s_add_u32 s8, s18, s6
	s_addc_u32 s9, s19, s7
	global_load_dword v10, v26, s[8:9]
	s_waitcnt vmcnt(1)
	ds_write_b64 v17, v[8:9]
	s_waitcnt vmcnt(0)
	v_readfirstlane_b32 s41, v10
	v_cmp_eq_u32_e32 vcc, -1, v10
	s_cmp_lg_u32 s41, -1
	s_cselect_b64 s[12:13], -1, 0
	s_cbranch_vccnz .LBB16_13
; %bb.18:                               ;   in Loop: Header=BB16_15 Depth=1
	s_add_u32 s8, s57, s6
	s_addc_u32 s9, s58, s7
	global_load_dword v8, v26, s[8:9]
	s_add_u32 s6, s24, s6
	s_addc_u32 s7, s25, s7
	s_waitcnt vmcnt(0)
	v_readfirstlane_b32 s48, v8
.LBB16_19:                              ;   Parent Loop BB16_15 Depth=1
                                        ; =>  This Inner Loop Header: Depth=2
	global_load_dword v8, v26, s[6:7] glc
	s_waitcnt vmcnt(0)
	v_cmp_eq_u32_e32 vcc, 0, v8
	s_cbranch_vccnz .LBB16_19
; %bb.20:                               ;   in Loop: Header=BB16_15 Depth=1
	v_mov_b32_e32 v8, 0
	v_mov_b32_e32 v9, v8
	s_waitcnt lgkmcnt(0)
	buffer_wbinvl1_vol
	s_and_saveexec_b64 s[6:7], s[2:3]
	s_cbranch_execz .LBB16_22
; %bb.21:                               ;   in Loop: Header=BB16_15 Depth=1
	s_mul_i32 s8, s41, s27
	v_add_u32_e32 v8, s8, v4
	v_mad_u64_u32 v[8:9], s[8:9], v8, s27, v[6:7]
	v_mov_b32_e32 v9, v26
	v_lshlrev_b64 v[8:9], 3, v[8:9]
	v_mov_b32_e32 v10, s17
	v_add_co_u32_e32 v8, vcc, s16, v8
	v_addc_co_u32_e32 v9, vcc, v10, v9, vcc
	global_load_dwordx2 v[8:9], v[8:9], off
.LBB16_22:                              ;   in Loop: Header=BB16_15 Depth=1
	s_or_b64 exec, exec, s[6:7]
	v_cmp_ne_u32_e64 s[6:7], 1, v27
	s_andn2_b64 vcc, exec, s[42:43]
	s_waitcnt vmcnt(0)
	ds_write_b64 v16, v[8:9]
	s_waitcnt lgkmcnt(0)
	s_cbranch_vccnz .LBB16_40
; %bb.23:                               ;   in Loop: Header=BB16_15 Depth=1
	s_andn2_b64 vcc, exec, s[44:45]
	s_mov_b32 s51, 0
	s_cbranch_vccnz .LBB16_34
; %bb.24:                               ;   in Loop: Header=BB16_15 Depth=1
	s_mov_b32 s49, 0
	v_mov_b32_e32 v10, v25
	v_mov_b32_e32 v11, v24
	;; [unrolled: 1-line block ×5, first 2 shown]
	s_mov_b32 s50, 0
	s_branch .LBB16_26
.LBB16_25:                              ;   in Loop: Header=BB16_26 Depth=2
	s_or_b64 exec, exec, s[8:9]
	s_add_i32 s50, s50, 2
	s_addk_i32 s49, 0xa0
	v_add_u32_e32 v14, 0x90, v14
	v_add_u32_e32 v13, 0x90, v13
	;; [unrolled: 1-line block ×5, first 2 shown]
	s_cmp_eq_u32 s39, s50
	s_mov_b32 s51, s39
	s_waitcnt lgkmcnt(0)
	s_cbranch_scc1 .LBB16_34
.LBB16_26:                              ;   Parent Loop BB16_15 Depth=1
                                        ; =>  This Inner Loop Header: Depth=2
	v_mov_b32_e32 v8, s49
	ds_read_b64 v[8:9], v8
	ds_read_b64 v[30:31], v12
	s_waitcnt lgkmcnt(0)
	v_mul_f32_e32 v15, v9, v9
	v_fmac_f32_e32 v15, v8, v8
	v_div_scale_f32 v29, s[8:9], v15, v15, 1.0
	v_rcp_f32_e32 v34, v29
	v_pk_mul_f32 v[32:33], v[8:9], v[30:31] op_sel:[1,1] op_sel_hi:[1,0] neg_hi:[0,1]
	v_pk_fma_f32 v[8:9], v[30:31], v[8:9], v[32:33] op_sel_hi:[1,0,1]
	v_div_scale_f32 v30, vcc, 1.0, v15, 1.0
	v_fma_f32 v31, -v29, v34, 1.0
	v_fmac_f32_e32 v34, v31, v34
	v_mul_f32_e32 v31, v30, v34
	v_fma_f32 v32, -v29, v31, v30
	v_fmac_f32_e32 v31, v32, v34
	v_fma_f32 v29, -v29, v31, v30
	v_div_fmas_f32 v29, v29, v34, v31
	v_div_fixup_f32 v30, v29, v15, 1.0
	v_pk_mul_f32 v[8:9], v[30:31], v[8:9] op_sel_hi:[0,1]
	s_and_saveexec_b64 s[8:9], s[10:11]
	s_cbranch_execz .LBB16_28
; %bb.27:                               ;   in Loop: Header=BB16_26 Depth=2
	ds_write_b64 v12, v[8:9]
.LBB16_28:                              ;   in Loop: Header=BB16_26 Depth=2
	s_or_b64 exec, exec, s[8:9]
	v_add_u32_e32 v15, s50, v7
	v_add_u32_e32 v29, 1, v15
	v_cmp_gt_i32_e32 vcc, s27, v29
	s_and_saveexec_b64 s[8:9], vcc
	s_cbranch_execz .LBB16_30
; %bb.29:                               ;   in Loop: Header=BB16_26 Depth=2
	ds_read_b64 v[30:31], v10
	ds_read_b64 v[32:33], v13
	s_waitcnt lgkmcnt(0)
	v_pk_fma_f32 v[32:33], v[8:9], v[30:31], v[32:33] op_sel_hi:[1,0,1] neg_lo:[1,0,0] neg_hi:[1,0,0]
	v_pk_fma_f32 v[8:9], v[8:9], v[30:31], v[32:33] op_sel:[1,1,0] op_sel_hi:[0,1,1] neg_hi:[1,0,0]
	ds_write_b64 v13, v[8:9]
.LBB16_30:                              ;   in Loop: Header=BB16_26 Depth=2
	s_or_b64 exec, exec, s[8:9]
	v_mov_b32_e32 v8, s49
	s_waitcnt lgkmcnt(0)
	ds_read_b64 v[8:9], v8 offset:80
	ds_read_b64 v[30:31], v12 offset:72
	s_waitcnt lgkmcnt(0)
	v_mul_f32_e32 v29, v9, v9
	v_fmac_f32_e32 v29, v8, v8
	v_div_scale_f32 v34, s[8:9], v29, v29, 1.0
	v_rcp_f32_e32 v35, v34
	v_div_scale_f32 v36, vcc, 1.0, v29, 1.0
	v_pk_mul_f32 v[32:33], v[8:9], v[30:31] op_sel:[1,1] op_sel_hi:[1,0] neg_hi:[0,1]
	v_fma_f32 v37, -v34, v35, 1.0
	v_fmac_f32_e32 v35, v37, v35
	v_mul_f32_e32 v37, v36, v35
	v_fma_f32 v38, -v34, v37, v36
	v_fmac_f32_e32 v37, v38, v35
	v_fma_f32 v34, -v34, v37, v36
	v_div_fmas_f32 v34, v34, v35, v37
	v_div_fixup_f32 v34, v34, v29, 1.0
	v_pk_fma_f32 v[8:9], v[30:31], v[8:9], v[32:33] op_sel_hi:[1,0,1]
	v_pk_mul_f32 v[8:9], v[34:35], v[8:9] op_sel_hi:[0,1]
	s_and_saveexec_b64 s[8:9], s[10:11]
	s_cbranch_execz .LBB16_32
; %bb.31:                               ;   in Loop: Header=BB16_26 Depth=2
	ds_write_b64 v12, v[8:9] offset:72
.LBB16_32:                              ;   in Loop: Header=BB16_26 Depth=2
	s_or_b64 exec, exec, s[8:9]
	v_add_u32_e32 v15, 2, v15
	v_cmp_gt_i32_e32 vcc, s27, v15
	s_and_saveexec_b64 s[8:9], vcc
	s_cbranch_execz .LBB16_25
; %bb.33:                               ;   in Loop: Header=BB16_26 Depth=2
	ds_read_b64 v[30:31], v11
	ds_read_b64 v[32:33], v14
	s_waitcnt lgkmcnt(0)
	v_pk_fma_f32 v[32:33], v[8:9], v[30:31], v[32:33] op_sel_hi:[1,0,1] neg_lo:[1,0,0] neg_hi:[1,0,0]
	v_pk_fma_f32 v[8:9], v[8:9], v[30:31], v[32:33] op_sel:[1,1,0] op_sel_hi:[0,1,1] neg_hi:[1,0,0]
	ds_write_b64 v14, v[8:9]
	s_branch .LBB16_25
.LBB16_34:                              ;   in Loop: Header=BB16_15 Depth=1
	s_andn2_b64 vcc, exec, s[46:47]
	s_cbranch_vccnz .LBB16_40
; %bb.35:                               ;   in Loop: Header=BB16_15 Depth=1
	s_lshl_b32 s8, s51, 3
	s_mul_i32 s9, s51, 0x48
	s_add_i32 s49, s9, s8
	v_mov_b32_e32 v8, s49
	ds_read_b64 v[8:9], v8
	v_lshl_add_u32 v10, v5, 3, s9
	ds_read_b64 v[12:13], v10 offset:576
	v_add_u32_e32 v10, 0x240, v10
	s_waitcnt lgkmcnt(0)
	v_mul_f32_e32 v11, v9, v9
	v_fmac_f32_e32 v11, v8, v8
	v_div_scale_f32 v14, s[8:9], v11, v11, 1.0
	v_rcp_f32_e32 v15, v14
	v_div_scale_f32 v29, vcc, 1.0, v11, 1.0
	v_fma_f32 v30, -v14, v15, 1.0
	v_fmac_f32_e32 v15, v30, v15
	v_mul_f32_e32 v30, v29, v15
	v_fma_f32 v31, -v14, v30, v29
	v_fmac_f32_e32 v30, v31, v15
	v_fma_f32 v14, -v14, v30, v29
	v_div_fmas_f32 v14, v14, v15, v30
	v_pk_mul_f32 v[30:31], v[8:9], v[12:13] op_sel:[1,1] op_sel_hi:[1,0] neg_hi:[0,1]
	v_div_fixup_f32 v14, v14, v11, 1.0
	v_pk_fma_f32 v[8:9], v[12:13], v[8:9], v[30:31] op_sel_hi:[1,0,1]
	v_pk_mul_f32 v[8:9], v[14:15], v[8:9] op_sel_hi:[0,1]
	s_and_saveexec_b64 s[8:9], s[10:11]
	s_cbranch_execz .LBB16_37
; %bb.36:                               ;   in Loop: Header=BB16_15 Depth=1
	ds_write_b64 v10, v[8:9]
.LBB16_37:                              ;   in Loop: Header=BB16_15 Depth=1
	s_or_b64 exec, exec, s[8:9]
	v_add3_u32 v11, s51, 1, v7
	v_cmp_gt_i32_e32 vcc, s27, v11
	s_and_saveexec_b64 s[8:9], vcc
	s_cbranch_execz .LBB16_39
; %bb.38:                               ;   in Loop: Header=BB16_15 Depth=1
	v_add_u32_e32 v11, s49, v20
	v_add_u32_e32 v14, v10, v20
	ds_read_b64 v[10:11], v11 offset:72
	ds_read_b64 v[12:13], v14 offset:72
	s_waitcnt lgkmcnt(0)
	v_pk_fma_f32 v[12:13], v[8:9], v[10:11], v[12:13] op_sel_hi:[1,0,1] neg_lo:[1,0,0] neg_hi:[1,0,0]
	v_pk_fma_f32 v[8:9], v[8:9], v[10:11], v[12:13] op_sel:[1,1,0] op_sel_hi:[0,1,1] neg_hi:[1,0,0]
	ds_write_b64 v14, v[8:9] offset:72
.LBB16_39:                              ;   in Loop: Header=BB16_15 Depth=1
	s_or_b64 exec, exec, s[8:9]
	s_waitcnt lgkmcnt(0)
.LBB16_40:                              ;   in Loop: Header=BB16_15 Depth=1
	s_and_saveexec_b64 s[8:9], s[2:3]
	s_cbranch_execz .LBB16_42
; %bb.41:                               ;   in Loop: Header=BB16_15 Depth=1
	s_mul_i32 s49, s40, s27
	v_add_u32_e32 v8, s49, v4
	v_mad_u64_u32 v[8:9], s[50:51], v8, s27, v[6:7]
	ds_read_b64 v[10:11], v17
	v_mov_b32_e32 v9, v26
	v_lshlrev_b64 v[8:9], 3, v[8:9]
	v_mov_b32_e32 v12, s17
	v_add_co_u32_e32 v8, vcc, s16, v8
	v_addc_co_u32_e32 v9, vcc, v12, v9, vcc
	s_waitcnt lgkmcnt(0)
	global_store_dwordx2 v[8:9], v[10:11], off
.LBB16_42:                              ;   in Loop: Header=BB16_15 Depth=1
	s_or_b64 exec, exec, s[8:9]
	s_sub_i32 s61, s48, s28
	s_add_i32 s48, s41, 1
	s_cmp_ge_i32 s48, s61
	s_cbranch_scc1 .LBB16_14
; %bb.43:                               ;   in Loop: Header=BB16_15 Depth=1
	s_load_dword s8, s[4:5], 0xc
	v_mov_b32_e32 v12, s15
	s_waitcnt lgkmcnt(0)
	s_and_b32 s8, s8, 0xffff
	v_mad_u32_u24 v8, v7, s8, v19
	v_ashrrev_i32_e32 v9, 31, v8
	v_lshlrev_b64 v[10:11], 2, v[8:9]
	v_add_co_u32_e32 v10, vcc, s14, v10
	v_cmp_gt_i32_e64 s[8:9], s29, v8
	v_addc_co_u32_e32 v11, vcc, v12, v11, vcc
	s_branch .LBB16_46
.LBB16_44:                              ;   in Loop: Header=BB16_46 Depth=2
	s_or_b64 exec, exec, s[50:51]
.LBB16_45:                              ;   in Loop: Header=BB16_46 Depth=2
	s_add_i32 s48, s48, 1
	s_cmp_lt_i32 s48, s61
	s_cbranch_scc0 .LBB16_14
.LBB16_46:                              ;   Parent Loop BB16_15 Depth=1
                                        ; =>  This Loop Header: Depth=2
                                        ;       Child Loop BB16_51 Depth 3
                                        ;       Child Loop BB16_59 Depth 3
	s_ashr_i32 s49, s48, 31
	s_lshl_b64 s[50:51], s[48:49], 2
	s_add_u32 s50, s14, s50
	s_addc_u32 s51, s15, s51
	global_load_dword v9, v26, s[50:51]
	v_mov_b32_e32 v13, s37
	s_and_saveexec_b64 s[50:51], s[8:9]
	s_cbranch_execz .LBB16_48
; %bb.47:                               ;   in Loop: Header=BB16_46 Depth=2
	global_load_dword v12, v[10:11], off
	s_waitcnt vmcnt(0)
	v_subrev_u32_e32 v13, s28, v12
.LBB16_48:                              ;   in Loop: Header=BB16_46 Depth=2
	s_or_b64 exec, exec, s[50:51]
	s_waitcnt vmcnt(0)
	v_subrev_u32_e32 v9, s28, v9
	v_cmp_lt_i32_e32 vcc, v13, v9
	v_mov_b32_e32 v14, v8
	s_and_saveexec_b64 s[50:51], vcc
	s_cbranch_execz .LBB16_54
; %bb.49:                               ;   in Loop: Header=BB16_46 Depth=2
	s_mov_b64 s[52:53], 0
	v_mov_b32_e32 v12, v8
	s_branch .LBB16_51
.LBB16_50:                              ;   in Loop: Header=BB16_51 Depth=3
	s_or_b64 exec, exec, s[54:55]
	v_cmp_ge_i32_e32 vcc, v13, v9
	s_or_b64 s[52:53], vcc, s[52:53]
	v_mov_b32_e32 v12, v14
	s_andn2_b64 exec, exec, s[52:53]
	s_cbranch_execz .LBB16_53
.LBB16_51:                              ;   Parent Loop BB16_15 Depth=1
                                        ;     Parent Loop BB16_46 Depth=2
                                        ; =>    This Inner Loop Header: Depth=3
	v_add_u32_e32 v14, 64, v12
	v_cmp_gt_i32_e32 vcc, s29, v14
	v_mov_b32_e32 v13, s37
	s_and_saveexec_b64 s[54:55], vcc
	s_cbranch_execz .LBB16_50
; %bb.52:                               ;   in Loop: Header=BB16_51 Depth=3
	v_ashrrev_i32_e32 v13, 31, v12
	v_lshlrev_b64 v[12:13], 2, v[12:13]
	v_mov_b32_e32 v15, s60
	v_add_co_u32_e32 v12, vcc, s59, v12
	v_addc_co_u32_e32 v13, vcc, v15, v13, vcc
	global_load_dword v12, v[12:13], off
	s_waitcnt vmcnt(0)
	v_subrev_u32_e32 v13, s28, v12
	s_branch .LBB16_50
.LBB16_53:                              ;   in Loop: Header=BB16_46 Depth=2
	s_or_b64 exec, exec, s[52:53]
.LBB16_54:                              ;   in Loop: Header=BB16_46 Depth=2
	s_or_b64 exec, exec, s[50:51]
	v_cmp_eq_u32_e32 vcc, v13, v9
	s_cbranch_vccz .LBB16_45
; %bb.55:                               ;   in Loop: Header=BB16_46 Depth=2
	s_ff1_i32_b64 s41, vcc
	v_and_or_b32 v9, v28, 64, s41
	v_lshlrev_b32_e32 v9, 2, v9
	ds_bpermute_b32 v9, v9, v14
	v_mov_b32_e32 v13, 0
	v_mov_b32_e32 v14, 0
	;; [unrolled: 1-line block ×3, first 2 shown]
	s_and_saveexec_b64 s[50:51], s[2:3]
	s_cbranch_execz .LBB16_57
; %bb.56:                               ;   in Loop: Header=BB16_46 Depth=2
	s_mul_i32 s41, s48, s27
	v_add_u32_e32 v12, s41, v4
	v_mad_u64_u32 v[14:15], s[52:53], v12, s27, v[6:7]
	v_mov_b32_e32 v15, v26
	v_lshlrev_b64 v[14:15], 3, v[14:15]
	v_mov_b32_e32 v12, s17
	v_add_co_u32_e32 v14, vcc, s16, v14
	v_addc_co_u32_e32 v15, vcc, v12, v15, vcc
	global_load_dwordx2 v[14:15], v[14:15], off
.LBB16_57:                              ;   in Loop: Header=BB16_46 Depth=2
	s_or_b64 exec, exec, s[50:51]
	s_and_b64 vcc, exec, s[6:7]
	v_mov_b32_e32 v12, 0
	s_waitcnt vmcnt(0)
	ds_write_b64 v16, v[14:15]
	s_waitcnt lgkmcnt(0)
	s_cbranch_vccnz .LBB16_60
; %bb.58:                               ;   in Loop: Header=BB16_46 Depth=2
	v_mov_b32_e32 v12, 0
	v_mov_b32_e32 v14, v23
	;; [unrolled: 1-line block ×3, first 2 shown]
	s_mov_b32 s41, s27
	v_mov_b32_e32 v13, v12
.LBB16_59:                              ;   Parent Loop BB16_15 Depth=1
                                        ;     Parent Loop BB16_46 Depth=2
                                        ; =>    This Inner Loop Header: Depth=3
	ds_read_b64 v[30:31], v15
	ds_read_b64 v[32:33], v14
	s_add_i32 s41, s41, -1
	v_add_u32_e32 v15, 8, v15
	v_add_u32_e32 v14, 0x48, v14
	s_cmp_eq_u32 s41, 0
	s_waitcnt lgkmcnt(0)
	v_pk_fma_f32 v[12:13], v[32:33], v[30:31], v[12:13] op_sel_hi:[1,0,1]
	v_pk_fma_f32 v[12:13], v[32:33], v[30:31], v[12:13] op_sel:[1,1,0] op_sel_hi:[0,1,1] neg_lo:[1,0,0]
	s_cbranch_scc0 .LBB16_59
.LBB16_60:                              ;   in Loop: Header=BB16_46 Depth=2
	s_and_saveexec_b64 s[50:51], s[2:3]
	s_cbranch_execz .LBB16_44
; %bb.61:                               ;   in Loop: Header=BB16_46 Depth=2
	v_mad_u64_u32 v[14:15], s[52:53], v9, s27, v[4:5]
	v_mad_u64_u32 v[14:15], s[52:53], v14, s27, v[6:7]
	v_mov_b32_e32 v15, v26
	v_lshlrev_b64 v[14:15], 3, v[14:15]
	v_mov_b32_e32 v9, s17
	v_add_co_u32_e32 v14, vcc, s16, v14
	v_addc_co_u32_e32 v15, vcc, v9, v15, vcc
	global_load_dwordx2 v[30:31], v[14:15], off
	s_waitcnt vmcnt(0)
	v_pk_add_f32 v[12:13], v[30:31], v[12:13] neg_lo:[0,1] neg_hi:[0,1]
	global_store_dwordx2 v[14:15], v[12:13], off
	s_branch .LBB16_44
.LBB16_62:
	s_ashr_i32 s37, s36, 31
	s_lshl_b64 s[2:3], s[36:37], 2
	s_add_u32 s2, s14, s2
	s_addc_u32 s3, s15, s3
	v_mov_b32_e32 v4, 0
	global_load_dword v5, v4, s[2:3]
	s_waitcnt vmcnt(0)
	v_subrev_u32_e32 v5, s28, v5
	v_cmp_ne_u32_e32 vcc, s26, v5
	s_cbranch_vccnz .LBB16_94
; %bb.63:
	v_and_b32_e32 v8, 0x3ff, v0
	v_bfe_u32 v9, v0, 10, 10
	v_max_u32_e32 v5, v8, v9
	v_cmp_gt_u32_e64 s[2:3], s27, v5
	v_mov_b32_e32 v5, 0
	s_and_saveexec_b64 s[4:5], s[2:3]
	s_cbranch_execz .LBB16_65
; %bb.64:
	s_cmp_eq_u32 s38, 0
	s_cselect_b64 vcc, -1, 0
	s_mul_i32 s6, s36, s27
	v_cndmask_b32_e32 v5, v9, v8, vcc
	v_cndmask_b32_e32 v4, v8, v9, vcc
	v_add_u32_e32 v5, s6, v5
	v_mad_u64_u32 v[4:5], s[6:7], v5, s27, v[4:5]
	v_mov_b32_e32 v5, 0
	v_lshlrev_b64 v[4:5], 3, v[4:5]
	v_mov_b32_e32 v6, s17
	v_add_co_u32_e32 v4, vcc, s16, v4
	v_addc_co_u32_e32 v5, vcc, v6, v5, vcc
	global_load_dwordx2 v[4:5], v[4:5], off
.LBB16_65:
	s_or_b64 exec, exec, s[4:5]
	v_lshlrev_b32_e32 v6, 3, v8
	s_movk_i32 s4, 0x48
	v_mad_u32_u24 v10, v9, s4, v6
	s_cmp_lt_i32 s27, 1
	s_waitcnt vmcnt(0)
	ds_write_b64 v10, v[4:5]
	s_waitcnt lgkmcnt(0)
	s_cbranch_scc1 .LBB16_91
; %bb.66:
	s_cmp_eq_u64 s[20:21], 8
	v_cvt_f64_f32_e32 v[4:5], v1
	s_cselect_b64 vcc, -1, 0
	v_cndmask_b32_e32 v2, v4, v2, vcc
	v_or_b32_e32 v1, v8, v9
	v_mul_u32_u24_e32 v4, 9, v9
	v_cndmask_b32_e32 v3, v5, v3, vcc
	s_mov_b32 s15, 0
	v_cmp_eq_u32_e64 s[4:5], 0, v1
	v_cmp_eq_u32_e64 s[6:7], 0, v9
	s_mov_b32 s14, 0xf800000
	v_mov_b32_e32 v1, 0x260
	v_lshlrev_b32_e32 v11, 3, v4
.LBB16_67:                              ; =>This Inner Loop Header: Depth=1
	s_lshl_b32 s8, s15, 3
	s_mul_i32 s18, s15, 0x48
	s_add_i32 s18, s18, s8
	s_waitcnt lgkmcnt(0)
	v_mov_b32_e32 v4, s18
	ds_read_b64 v[4:5], v4
	s_and_b64 vcc, exec, s[0:1]
	s_mov_b64 s[10:11], 0
	s_cbranch_vccnz .LBB16_72
; %bb.68:                               ;   in Loop: Header=BB16_67 Depth=1
	s_waitcnt lgkmcnt(0)
	v_cmp_gt_f32_e32 vcc, 0, v4
	v_cndmask_b32_e64 v6, v4, -v4, vcc
	v_cmp_gt_f32_e32 vcc, 0, v5
	v_cndmask_b32_e64 v7, v5, -v5, vcc
	v_cmp_ngt_f32_e32 vcc, v6, v7
	s_cbranch_vccz .LBB16_73
; %bb.69:                               ;   in Loop: Header=BB16_67 Depth=1
	v_cmp_eq_f32_e32 vcc, 0, v5
	v_mov_b32_e32 v12, 0
	s_cbranch_vccnz .LBB16_71
; %bb.70:                               ;   in Loop: Header=BB16_67 Depth=1
	v_div_scale_f32 v12, s[8:9], v7, v7, v6
	v_rcp_f32_e32 v13, v12
	v_div_scale_f32 v14, vcc, v6, v7, v6
	v_fma_f32 v15, -v12, v13, 1.0
	v_fmac_f32_e32 v13, v15, v13
	v_mul_f32_e32 v15, v14, v13
	v_fma_f32 v16, -v12, v15, v14
	v_fmac_f32_e32 v15, v16, v13
	v_fma_f32 v12, -v12, v15, v14
	v_div_fmas_f32 v12, v12, v13, v15
	v_div_fixup_f32 v12, v12, v7, v6
	v_fma_f32 v12, v12, v12, 1.0
	v_mul_f32_e32 v13, 0x4f800000, v12
	v_cmp_gt_f32_e32 vcc, s14, v12
	v_cndmask_b32_e32 v12, v12, v13, vcc
	v_sqrt_f32_e32 v13, v12
	v_add_u32_e32 v14, -1, v13
	v_fma_f32 v15, -v14, v13, v12
	v_cmp_ge_f32_e64 s[8:9], 0, v15
	v_add_u32_e32 v15, 1, v13
	v_cndmask_b32_e64 v14, v13, v14, s[8:9]
	v_fma_f32 v13, -v15, v13, v12
	v_cmp_lt_f32_e64 s[8:9], 0, v13
	v_cndmask_b32_e64 v13, v14, v15, s[8:9]
	v_mul_f32_e32 v14, 0x37800000, v13
	v_cndmask_b32_e32 v13, v13, v14, vcc
	v_cmp_class_f32_e32 vcc, v12, v1
	v_cndmask_b32_e32 v12, v13, v12, vcc
	v_mul_f32_e32 v12, v7, v12
.LBB16_71:                              ;   in Loop: Header=BB16_67 Depth=1
	s_cbranch_execz .LBB16_74
	s_branch .LBB16_75
.LBB16_72:                              ;   in Loop: Header=BB16_67 Depth=1
                                        ; implicit-def: $vgpr6_vgpr7
	s_mov_b64 s[8:9], 0
	s_cbranch_execnz .LBB16_78
	s_branch .LBB16_79
.LBB16_73:                              ;   in Loop: Header=BB16_67 Depth=1
                                        ; implicit-def: $vgpr12
.LBB16_74:                              ;   in Loop: Header=BB16_67 Depth=1
	v_div_scale_f32 v12, s[8:9], v6, v6, v7
	v_rcp_f32_e32 v13, v12
	v_div_scale_f32 v14, vcc, v7, v6, v7
	v_fma_f32 v15, -v12, v13, 1.0
	v_fmac_f32_e32 v13, v15, v13
	v_mul_f32_e32 v15, v14, v13
	v_fma_f32 v16, -v12, v15, v14
	v_fmac_f32_e32 v15, v16, v13
	v_fma_f32 v12, -v12, v15, v14
	v_div_fmas_f32 v12, v12, v13, v15
	v_div_fixup_f32 v7, v12, v6, v7
	v_fma_f32 v7, v7, v7, 1.0
	v_mul_f32_e32 v12, 0x4f800000, v7
	v_cmp_gt_f32_e32 vcc, s14, v7
	v_cndmask_b32_e32 v7, v7, v12, vcc
	v_sqrt_f32_e32 v12, v7
	v_add_u32_e32 v13, -1, v12
	v_fma_f32 v14, -v13, v12, v7
	v_cmp_ge_f32_e64 s[8:9], 0, v14
	v_add_u32_e32 v14, 1, v12
	v_cndmask_b32_e64 v13, v12, v13, s[8:9]
	v_fma_f32 v12, -v14, v12, v7
	v_cmp_lt_f32_e64 s[8:9], 0, v12
	v_cndmask_b32_e64 v12, v13, v14, s[8:9]
	v_mul_f32_e32 v13, 0x37800000, v12
	v_cndmask_b32_e32 v12, v12, v13, vcc
	v_cmp_class_f32_e32 vcc, v7, v1
	v_cndmask_b32_e32 v7, v12, v7, vcc
	v_mul_f32_e32 v12, v6, v7
.LBB16_75:                              ;   in Loop: Header=BB16_67 Depth=1
	v_cvt_f64_f32_e32 v[6:7], v12
	v_mov_b32_e32 v12, s56
	v_cmp_ge_f64_e32 vcc, v[2:3], v[6:7]
	v_mov_b32_e32 v6, s33
	v_cndmask_b32_e32 v7, v5, v12, vcc
	v_cndmask_b32_e32 v6, v4, v6, vcc
	s_and_saveexec_b64 s[8:9], s[4:5]
	s_cbranch_execz .LBB16_77
; %bb.76:                               ;   in Loop: Header=BB16_67 Depth=1
	v_mov_b32_e32 v12, s18
	ds_write_b64 v12, v[6:7]
.LBB16_77:                              ;   in Loop: Header=BB16_67 Depth=1
	s_or_b64 exec, exec, s[8:9]
	s_mov_b64 s[8:9], -1
	s_branch .LBB16_79
.LBB16_78:                              ;   in Loop: Header=BB16_67 Depth=1
	s_waitcnt lgkmcnt(0)
	v_cmp_neq_f32_e32 vcc, 0, v4
	v_cmp_neq_f32_e64 s[8:9], 0, v5
	s_or_b64 s[8:9], vcc, s[8:9]
	s_mov_b64 s[10:11], -1
	v_pk_mov_b32 v[6:7], v[4:5], v[4:5] op_sel:[0,1]
.LBB16_79:                              ;   in Loop: Header=BB16_67 Depth=1
	s_andn2_b64 vcc, exec, s[8:9]
                                        ; implicit-def: $sgpr12
	s_cbranch_vccz .LBB16_82
; %bb.80:                               ;   in Loop: Header=BB16_67 Depth=1
	s_andn2_b64 vcc, exec, s[10:11]
	s_cbranch_vccz .LBB16_88
.LBB16_81:                              ;   in Loop: Header=BB16_67 Depth=1
	s_cmp_eq_u32 s12, s27
	s_cbranch_scc0 .LBB16_89
	s_branch .LBB16_91
.LBB16_82:                              ;   in Loop: Header=BB16_67 Depth=1
	s_add_i32 s12, s15, 1
	s_waitcnt lgkmcnt(0)
	v_add_u32_e32 v4, s12, v8
	v_cmp_gt_i32_e32 vcc, s27, v4
	s_and_saveexec_b64 s[8:9], vcc
	s_cbranch_execz .LBB16_87
; %bb.83:                               ;   in Loop: Header=BB16_67 Depth=1
	v_mul_f32_e32 v13, v7, v7
	v_fmac_f32_e32 v13, v6, v6
	v_div_scale_f32 v14, s[10:11], v13, v13, 1.0
	v_rcp_f32_e32 v15, v14
	v_div_scale_f32 v16, vcc, 1.0, v13, 1.0
	v_lshl_add_u32 v12, v8, 3, s18
	v_fma_f32 v4, -v14, v15, 1.0
	v_fmac_f32_e32 v15, v4, v15
	v_mul_f32_e32 v17, v16, v15
	v_fma_f32 v4, -v14, v17, v16
	v_fmac_f32_e32 v17, v4, v15
	ds_read_b64 v[4:5], v12 offset:8
	v_fma_f32 v14, -v14, v17, v16
	v_div_fmas_f32 v14, v14, v15, v17
	v_div_fixup_f32 v14, v14, v13, 1.0
	s_waitcnt lgkmcnt(0)
	v_pk_mul_f32 v[16:17], v[6:7], v[4:5] op_sel:[1,1] op_sel_hi:[1,0] neg_hi:[0,1]
	v_pk_fma_f32 v[4:5], v[4:5], v[6:7], v[16:17] op_sel_hi:[1,0,1]
	v_pk_mul_f32 v[4:5], v[14:15], v[4:5] op_sel_hi:[0,1]
	s_and_saveexec_b64 s[10:11], s[6:7]
	s_cbranch_execz .LBB16_85
; %bb.84:                               ;   in Loop: Header=BB16_67 Depth=1
	ds_write_b64 v12, v[4:5] offset:8
.LBB16_85:                              ;   in Loop: Header=BB16_67 Depth=1
	s_or_b64 exec, exec, s[10:11]
	v_add_u32_e32 v6, s12, v9
	v_cmp_gt_i32_e32 vcc, s27, v6
	s_and_b64 exec, exec, vcc
	s_cbranch_execz .LBB16_87
; %bb.86:                               ;   in Loop: Header=BB16_67 Depth=1
	v_add_u32_e32 v6, s18, v11
	v_add_u32_e32 v14, v12, v11
	ds_read_b64 v[6:7], v6 offset:72
	ds_read_b64 v[12:13], v14 offset:80
	s_waitcnt lgkmcnt(0)
	v_pk_fma_f32 v[12:13], v[4:5], v[6:7], v[12:13] op_sel_hi:[1,0,1] neg_lo:[1,0,0] neg_hi:[1,0,0]
	v_pk_fma_f32 v[4:5], v[4:5], v[6:7], v[12:13] op_sel:[1,1,0] op_sel_hi:[0,1,1] neg_hi:[1,0,0]
	ds_write_b64 v14, v[4:5] offset:80
.LBB16_87:                              ;   in Loop: Header=BB16_67 Depth=1
	s_or_b64 exec, exec, s[8:9]
	s_cbranch_execnz .LBB16_81
.LBB16_88:                              ;   in Loop: Header=BB16_67 Depth=1
	s_add_i32 s12, s15, 1
	s_mov_b64 s[34:35], -1
	s_cmp_eq_u32 s12, s27
	s_cbranch_scc1 .LBB16_91
.LBB16_89:                              ;   in Loop: Header=BB16_67 Depth=1
	s_mov_b32 s15, s12
	s_branch .LBB16_67
.LBB16_90:
	s_mov_b64 s[34:35], -1
	s_branch .LBB16_118
.LBB16_91:
	s_waitcnt lgkmcnt(0)
	s_and_saveexec_b64 s[0:1], s[2:3]
	s_cbranch_execz .LBB16_93
; %bb.92:
	s_cmp_eq_u32 s38, 0
	s_cselect_b64 vcc, -1, 0
	s_mul_i32 s2, s36, s27
	v_cndmask_b32_e32 v1, v9, v8, vcc
	v_cndmask_b32_e32 v2, v8, v9, vcc
	v_add_u32_e32 v1, s2, v1
	v_mad_u64_u32 v[2:3], s[2:3], v1, s27, v[2:3]
	ds_read_b64 v[4:5], v10
	v_mov_b32_e32 v3, 0
	v_lshlrev_b64 v[2:3], 3, v[2:3]
	v_mov_b32_e32 v1, s17
	v_add_co_u32_e32 v2, vcc, s16, v2
	v_addc_co_u32_e32 v3, vcc, v1, v3, vcc
	s_waitcnt lgkmcnt(0)
	global_store_dwordx2 v[2:3], v[4:5], off
.LBB16_93:
	s_or_b64 exec, exec, s[0:1]
.LBB16_94:
	s_add_i32 s10, s36, 1
	s_cmp_ge_i32 s10, s29
	s_cbranch_scc1 .LBB16_118
; %bb.95:
	s_cmp_eq_u32 s38, 0
	s_cselect_b64 vcc, -1, 0
	s_cmp_gt_i32 s27, 0
	v_bfe_u32 v1, v0, 10, 10
	v_and_b32_e32 v4, 0x3ff, v0
	s_cselect_b64 s[2:3], -1, 0
	s_add_i32 s4, s27, -1
	s_and_b32 s11, s27, 3
	v_lshlrev_b32_e32 v2, 3, v4
	v_mul_u32_u24_e32 v3, 0x48, v1
	s_movk_i32 s0, 0x240
	s_cmp_gt_u32 s4, 2
	s_movk_i32 s6, 0x48
	v_add3_u32 v3, v3, v2, s0
	v_max_u32_e32 v2, v4, v1
	s_cselect_b64 s[4:5], -1, 0
	s_and_b32 s12, s27, 0x7ffffffc
	v_mov_b32_e32 v8, 0x240
	v_cmp_gt_u32_e64 s[0:1], s27, v2
	v_cndmask_b32_e32 v6, v1, v4, vcc
	v_cndmask_b32_e32 v2, v4, v1, vcc
	s_cmp_lg_u32 s11, 0
	v_lshlrev_b32_e32 v7, 3, v1
	v_mul_u32_u24_e32 v5, 0x48, v4
	v_mad_u32_u24 v8, v4, s6, v8
	s_movk_i32 s6, 0x248
	v_cndmask_b32_e64 v4, 0, 1, s[2:3]
	v_add3_u32 v10, v5, v7, s6
	v_cmp_ne_u32_e64 s[2:3], 1, v4
	v_cndmask_b32_e64 v4, 0, 1, s[4:5]
	s_cselect_b64 s[6:7], -1, 0
	v_cmp_ne_u32_e64 s[4:5], 1, v4
	v_cndmask_b32_e64 v4, 0, 1, s[6:7]
	v_add_u32_e32 v9, 8, v7
	v_mov_b32_e32 v11, 0
	v_cmp_ne_u32_e64 s[6:7], 1, v4
	s_branch .LBB16_97
.LBB16_96:                              ;   in Loop: Header=BB16_97 Depth=1
	s_or_b64 exec, exec, s[8:9]
	s_add_i32 s10, s10, 1
	s_cmp_lt_i32 s10, s29
	s_cbranch_scc0 .LBB16_118
.LBB16_97:                              ; =>This Loop Header: Depth=1
                                        ;     Child Loop BB16_103 Depth 2
                                        ;     Child Loop BB16_114 Depth 2
	s_mul_i32 s8, s10, s27
	v_add_u32_e32 v12, s8, v6
	v_mov_b32_e32 v4, 0
	v_mov_b32_e32 v5, 0
	s_waitcnt lgkmcnt(0)
	s_and_saveexec_b64 s[8:9], s[0:1]
	s_cbranch_execz .LBB16_99
; %bb.98:                               ;   in Loop: Header=BB16_97 Depth=1
	v_mad_u64_u32 v[4:5], s[14:15], v12, s27, v[2:3]
	v_mov_b32_e32 v5, v11
	v_lshlrev_b64 v[4:5], 3, v[4:5]
	v_mov_b32_e32 v13, s17
	v_add_co_u32_e32 v4, vcc, s16, v4
	v_addc_co_u32_e32 v5, vcc, v13, v5, vcc
	global_load_dwordx2 v[4:5], v[4:5], off
.LBB16_99:                              ;   in Loop: Header=BB16_97 Depth=1
	s_or_b64 exec, exec, s[8:9]
	s_and_b64 vcc, exec, s[2:3]
	s_waitcnt vmcnt(0)
	ds_write_b64 v3, v[4:5]
	s_waitcnt lgkmcnt(0)
	s_cbranch_vccnz .LBB16_116
; %bb.100:                              ;   in Loop: Header=BB16_97 Depth=1
	s_and_b64 vcc, exec, s[4:5]
	s_mov_b32 s8, 0
	s_cbranch_vccnz .LBB16_111
; %bb.101:                              ;   in Loop: Header=BB16_97 Depth=1
	s_mov_b32 s13, 0
	s_mov_b32 s14, 8
	v_mov_b32_e32 v4, v8
	s_branch .LBB16_103
.LBB16_102:                             ;   in Loop: Header=BB16_103 Depth=2
	s_or_b64 exec, exec, s[8:9]
	s_add_i32 s13, s13, 4
	s_addk_i32 s14, 0x140
	v_add_u32_e32 v4, 32, v4
	s_cmp_eq_u32 s12, s13
	s_mov_b32 s8, s12
	s_cbranch_scc1 .LBB16_111
.LBB16_103:                             ;   Parent Loop BB16_97 Depth=1
                                        ; =>  This Inner Loop Header: Depth=2
	v_add_u32_e32 v14, s13, v1
	v_add_u32_e32 v5, 1, v14
	v_cmp_gt_i32_e32 vcc, s27, v5
	v_add_u32_e32 v13, s14, v7
	v_add_u32_e32 v5, v4, v7
	s_and_saveexec_b64 s[8:9], vcc
	s_cbranch_execz .LBB16_105
; %bb.104:                              ;   in Loop: Header=BB16_103 Depth=2
	ds_read_b64 v[16:17], v13
	ds_read_b64 v[18:19], v4
	ds_read_b64 v[20:21], v5 offset:8
	s_waitcnt lgkmcnt(0)
	v_pk_fma_f32 v[20:21], v[16:17], v[18:19], v[20:21] op_sel_hi:[1,0,1] neg_lo:[1,0,0] neg_hi:[1,0,0]
	v_pk_fma_f32 v[16:17], v[16:17], v[18:19], v[20:21] op_sel:[1,1,0] op_sel_hi:[0,1,1] neg_hi:[1,0,0]
	ds_write_b64 v5, v[16:17] offset:8
.LBB16_105:                             ;   in Loop: Header=BB16_103 Depth=2
	s_or_b64 exec, exec, s[8:9]
	v_add_u32_e32 v15, 2, v14
	v_cmp_gt_i32_e32 vcc, s27, v15
	s_and_saveexec_b64 s[8:9], vcc
	s_cbranch_execz .LBB16_107
; %bb.106:                              ;   in Loop: Header=BB16_103 Depth=2
	ds_read_b64 v[16:17], v13 offset:80
	ds_read_b64 v[18:19], v4 offset:8
	;; [unrolled: 1-line block ×3, first 2 shown]
	s_waitcnt lgkmcnt(0)
	v_pk_fma_f32 v[20:21], v[16:17], v[18:19], v[20:21] op_sel_hi:[1,0,1] neg_lo:[1,0,0] neg_hi:[1,0,0]
	v_pk_fma_f32 v[16:17], v[16:17], v[18:19], v[20:21] op_sel:[1,1,0] op_sel_hi:[0,1,1] neg_hi:[1,0,0]
	ds_write_b64 v5, v[16:17] offset:16
.LBB16_107:                             ;   in Loop: Header=BB16_103 Depth=2
	s_or_b64 exec, exec, s[8:9]
	v_add_u32_e32 v15, 3, v14
	v_cmp_gt_i32_e32 vcc, s27, v15
	s_and_saveexec_b64 s[8:9], vcc
	s_cbranch_execz .LBB16_109
; %bb.108:                              ;   in Loop: Header=BB16_103 Depth=2
	ds_read_b64 v[16:17], v13 offset:160
	ds_read_b64 v[18:19], v4 offset:16
	;; [unrolled: 1-line block ×3, first 2 shown]
	s_waitcnt lgkmcnt(0)
	v_pk_fma_f32 v[20:21], v[16:17], v[18:19], v[20:21] op_sel_hi:[1,0,1] neg_lo:[1,0,0] neg_hi:[1,0,0]
	v_pk_fma_f32 v[16:17], v[16:17], v[18:19], v[20:21] op_sel:[1,1,0] op_sel_hi:[0,1,1] neg_hi:[1,0,0]
	ds_write_b64 v5, v[16:17] offset:24
.LBB16_109:                             ;   in Loop: Header=BB16_103 Depth=2
	s_or_b64 exec, exec, s[8:9]
	v_add_u32_e32 v14, 4, v14
	v_cmp_gt_i32_e32 vcc, s27, v14
	s_and_saveexec_b64 s[8:9], vcc
	s_cbranch_execz .LBB16_102
; %bb.110:                              ;   in Loop: Header=BB16_103 Depth=2
	ds_read_b64 v[14:15], v13 offset:240
	ds_read_b64 v[16:17], v4 offset:24
	;; [unrolled: 1-line block ×3, first 2 shown]
	s_waitcnt lgkmcnt(0)
	v_pk_fma_f32 v[18:19], v[14:15], v[16:17], v[18:19] op_sel_hi:[1,0,1] neg_lo:[1,0,0] neg_hi:[1,0,0]
	v_pk_fma_f32 v[14:15], v[14:15], v[16:17], v[18:19] op_sel:[1,1,0] op_sel_hi:[0,1,1] neg_hi:[1,0,0]
	ds_write_b64 v5, v[14:15] offset:32
	s_branch .LBB16_102
.LBB16_111:                             ;   in Loop: Header=BB16_97 Depth=1
	s_and_b64 vcc, exec, s[6:7]
	s_cbranch_vccnz .LBB16_116
; %bb.112:                              ;   in Loop: Header=BB16_97 Depth=1
	s_mul_i32 s9, s8, 0x50
	v_add_u32_e32 v5, s8, v1
	s_lshl_b32 s8, s8, 3
	v_add_u32_e32 v4, s9, v9
	v_add_u32_e32 v13, s8, v10
	;; [unrolled: 1-line block ×3, first 2 shown]
	s_mov_b32 s13, s11
	s_branch .LBB16_114
.LBB16_113:                             ;   in Loop: Header=BB16_114 Depth=2
	s_or_b64 exec, exec, s[8:9]
	s_add_i32 s13, s13, -1
	v_add_u32_e32 v4, 0x50, v4
	v_add_u32_e32 v13, 8, v13
	s_cmp_lg_u32 s13, 0
	v_add_u32_e32 v14, 8, v14
	s_cbranch_scc0 .LBB16_116
.LBB16_114:                             ;   Parent Loop BB16_97 Depth=1
                                        ; =>  This Inner Loop Header: Depth=2
	v_add_u32_e32 v5, 1, v5
	v_cmp_gt_i32_e32 vcc, s27, v5
	s_and_saveexec_b64 s[8:9], vcc
	s_cbranch_execz .LBB16_113
; %bb.115:                              ;   in Loop: Header=BB16_114 Depth=2
	ds_read_b64 v[16:17], v14
	ds_read_b64 v[18:19], v4
	;; [unrolled: 1-line block ×3, first 2 shown]
	s_waitcnt lgkmcnt(0)
	v_pk_fma_f32 v[20:21], v[18:19], v[16:17], v[20:21] op_sel_hi:[1,0,1] neg_lo:[1,0,0] neg_hi:[1,0,0]
	v_pk_fma_f32 v[16:17], v[18:19], v[16:17], v[20:21] op_sel:[1,1,0] op_sel_hi:[0,1,1] neg_hi:[1,0,0]
	ds_write_b64 v13, v[16:17]
	s_branch .LBB16_113
.LBB16_116:                             ;   in Loop: Header=BB16_97 Depth=1
	s_waitcnt lgkmcnt(0)
	s_and_saveexec_b64 s[8:9], s[0:1]
	s_cbranch_execz .LBB16_96
; %bb.117:                              ;   in Loop: Header=BB16_97 Depth=1
	v_mad_u64_u32 v[4:5], s[14:15], v12, s27, v[2:3]
	ds_read_b64 v[12:13], v3
	v_mov_b32_e32 v5, v11
	v_lshlrev_b64 v[4:5], 3, v[4:5]
	v_mov_b32_e32 v14, s17
	v_add_co_u32_e32 v4, vcc, s16, v4
	v_addc_co_u32_e32 v5, vcc, v14, v5, vcc
	s_waitcnt lgkmcnt(0)
	global_store_dwordx2 v[4:5], v[12:13], off
	s_branch .LBB16_96
.LBB16_118:
	v_and_b32_e32 v1, 0x3ff, v0
	v_bfe_u32 v0, v0, 10, 10
	v_or_b32_e32 v0, v1, v0
	v_cmp_eq_u32_e32 vcc, 0, v0
	s_and_saveexec_b64 s[0:1], vcc
	s_cbranch_execz .LBB16_122
; %bb.119:
	s_add_u32 s0, s24, s30
	s_addc_u32 s1, s25, s31
	v_mov_b32_e32 v0, 0
	v_mov_b32_e32 v1, 1
	s_andn2_b64 vcc, exec, s[34:35]
	s_waitcnt vmcnt(0)
	global_store_dword v0, v1, s[0:1]
	s_cbranch_vccnz .LBB16_122
; %bb.120:
	v_mbcnt_lo_u32_b32 v0, exec_lo, 0
	v_mbcnt_hi_u32_b32 v0, exec_hi, v0
	v_cmp_eq_u32_e32 vcc, 0, v0
	s_and_b64 exec, exec, vcc
	s_cbranch_execz .LBB16_122
; %bb.121:
	s_add_i32 s0, s26, s28
	v_mov_b32_e32 v0, 0
	v_mov_b32_e32 v1, s0
	global_atomic_smin v0, v1, s[22:23]
.LBB16_122:
	s_endpgm
	.section	.rodata,"a",@progbits
	.p2align	6, 0x0
	.amdhsa_kernel _ZN9rocsparseL11bsrilu0_2_8ILj64ELj64ELj8E21rocsparse_complex_numIfEEEv20rocsparse_direction_iPKiS5_PT2_S5_iPiS5_S8_21rocsparse_index_base_imNS_24const_host_device_scalarIfEENSA_IdEENSA_IS6_EEb
		.amdhsa_group_segment_fixed_size 1152
		.amdhsa_private_segment_fixed_size 0
		.amdhsa_kernarg_size 376
		.amdhsa_user_sgpr_count 6
		.amdhsa_user_sgpr_private_segment_buffer 1
		.amdhsa_user_sgpr_dispatch_ptr 0
		.amdhsa_user_sgpr_queue_ptr 0
		.amdhsa_user_sgpr_kernarg_segment_ptr 1
		.amdhsa_user_sgpr_dispatch_id 0
		.amdhsa_user_sgpr_flat_scratch_init 0
		.amdhsa_user_sgpr_kernarg_preload_length 0
		.amdhsa_user_sgpr_kernarg_preload_offset 0
		.amdhsa_user_sgpr_private_segment_size 0
		.amdhsa_uses_dynamic_stack 0
		.amdhsa_system_sgpr_private_segment_wavefront_offset 0
		.amdhsa_system_sgpr_workgroup_id_x 1
		.amdhsa_system_sgpr_workgroup_id_y 0
		.amdhsa_system_sgpr_workgroup_id_z 0
		.amdhsa_system_sgpr_workgroup_info 0
		.amdhsa_system_vgpr_workitem_id 1
		.amdhsa_next_free_vgpr 39
		.amdhsa_next_free_sgpr 62
		.amdhsa_accum_offset 40
		.amdhsa_reserve_vcc 1
		.amdhsa_reserve_flat_scratch 0
		.amdhsa_float_round_mode_32 0
		.amdhsa_float_round_mode_16_64 0
		.amdhsa_float_denorm_mode_32 3
		.amdhsa_float_denorm_mode_16_64 3
		.amdhsa_dx10_clamp 1
		.amdhsa_ieee_mode 1
		.amdhsa_fp16_overflow 0
		.amdhsa_tg_split 0
		.amdhsa_exception_fp_ieee_invalid_op 0
		.amdhsa_exception_fp_denorm_src 0
		.amdhsa_exception_fp_ieee_div_zero 0
		.amdhsa_exception_fp_ieee_overflow 0
		.amdhsa_exception_fp_ieee_underflow 0
		.amdhsa_exception_fp_ieee_inexact 0
		.amdhsa_exception_int_div_zero 0
	.end_amdhsa_kernel
	.section	.text._ZN9rocsparseL11bsrilu0_2_8ILj64ELj64ELj8E21rocsparse_complex_numIfEEEv20rocsparse_direction_iPKiS5_PT2_S5_iPiS5_S8_21rocsparse_index_base_imNS_24const_host_device_scalarIfEENSA_IdEENSA_IS6_EEb,"axG",@progbits,_ZN9rocsparseL11bsrilu0_2_8ILj64ELj64ELj8E21rocsparse_complex_numIfEEEv20rocsparse_direction_iPKiS5_PT2_S5_iPiS5_S8_21rocsparse_index_base_imNS_24const_host_device_scalarIfEENSA_IdEENSA_IS6_EEb,comdat
.Lfunc_end16:
	.size	_ZN9rocsparseL11bsrilu0_2_8ILj64ELj64ELj8E21rocsparse_complex_numIfEEEv20rocsparse_direction_iPKiS5_PT2_S5_iPiS5_S8_21rocsparse_index_base_imNS_24const_host_device_scalarIfEENSA_IdEENSA_IS6_EEb, .Lfunc_end16-_ZN9rocsparseL11bsrilu0_2_8ILj64ELj64ELj8E21rocsparse_complex_numIfEEEv20rocsparse_direction_iPKiS5_PT2_S5_iPiS5_S8_21rocsparse_index_base_imNS_24const_host_device_scalarIfEENSA_IdEENSA_IS6_EEb
                                        ; -- End function
	.section	.AMDGPU.csdata,"",@progbits
; Kernel info:
; codeLenInByte = 4708
; NumSgprs: 66
; NumVgprs: 39
; NumAgprs: 0
; TotalNumVgprs: 39
; ScratchSize: 0
; MemoryBound: 0
; FloatMode: 240
; IeeeMode: 1
; LDSByteSize: 1152 bytes/workgroup (compile time only)
; SGPRBlocks: 8
; VGPRBlocks: 4
; NumSGPRsForWavesPerEU: 66
; NumVGPRsForWavesPerEU: 39
; AccumOffset: 40
; Occupancy: 8
; WaveLimiterHint : 1
; COMPUTE_PGM_RSRC2:SCRATCH_EN: 0
; COMPUTE_PGM_RSRC2:USER_SGPR: 6
; COMPUTE_PGM_RSRC2:TRAP_HANDLER: 0
; COMPUTE_PGM_RSRC2:TGID_X_EN: 1
; COMPUTE_PGM_RSRC2:TGID_Y_EN: 0
; COMPUTE_PGM_RSRC2:TGID_Z_EN: 0
; COMPUTE_PGM_RSRC2:TIDIG_COMP_CNT: 1
; COMPUTE_PGM_RSRC3_GFX90A:ACCUM_OFFSET: 9
; COMPUTE_PGM_RSRC3_GFX90A:TG_SPLIT: 0
	.section	.text._ZN9rocsparseL12bsrilu0_9_32ILj64ELj64ELj16E21rocsparse_complex_numIfEEEv20rocsparse_direction_iPKiS5_PT2_S5_iPiS5_S8_21rocsparse_index_base_imNS_24const_host_device_scalarIfEENSA_IdEENSA_IS6_EEb,"axG",@progbits,_ZN9rocsparseL12bsrilu0_9_32ILj64ELj64ELj16E21rocsparse_complex_numIfEEEv20rocsparse_direction_iPKiS5_PT2_S5_iPiS5_S8_21rocsparse_index_base_imNS_24const_host_device_scalarIfEENSA_IdEENSA_IS6_EEb,comdat
	.globl	_ZN9rocsparseL12bsrilu0_9_32ILj64ELj64ELj16E21rocsparse_complex_numIfEEEv20rocsparse_direction_iPKiS5_PT2_S5_iPiS5_S8_21rocsparse_index_base_imNS_24const_host_device_scalarIfEENSA_IdEENSA_IS6_EEb ; -- Begin function _ZN9rocsparseL12bsrilu0_9_32ILj64ELj64ELj16E21rocsparse_complex_numIfEEEv20rocsparse_direction_iPKiS5_PT2_S5_iPiS5_S8_21rocsparse_index_base_imNS_24const_host_device_scalarIfEENSA_IdEENSA_IS6_EEb
	.p2align	8
	.type	_ZN9rocsparseL12bsrilu0_9_32ILj64ELj64ELj16E21rocsparse_complex_numIfEEEv20rocsparse_direction_iPKiS5_PT2_S5_iPiS5_S8_21rocsparse_index_base_imNS_24const_host_device_scalarIfEENSA_IdEENSA_IS6_EEb,@function
_ZN9rocsparseL12bsrilu0_9_32ILj64ELj64ELj16E21rocsparse_complex_numIfEEEv20rocsparse_direction_iPKiS5_PT2_S5_iPiS5_S8_21rocsparse_index_base_imNS_24const_host_device_scalarIfEENSA_IdEENSA_IS6_EEb: ; @_ZN9rocsparseL12bsrilu0_9_32ILj64ELj64ELj16E21rocsparse_complex_numIfEEEv20rocsparse_direction_iPKiS5_PT2_S5_iPiS5_S8_21rocsparse_index_base_imNS_24const_host_device_scalarIfEENSA_IdEENSA_IS6_EEb
; %bb.0:
	s_load_dword s0, s[4:5], 0x70
	s_load_dwordx2 s[34:35], s[4:5], 0x48
	s_load_dwordx8 s[36:43], s[4:5], 0x50
	s_waitcnt lgkmcnt(0)
	s_bitcmp1_b32 s0, 0
	s_cselect_b64 s[2:3], -1, 0
	s_cmp_lg_u32 s35, 0
	s_cselect_b64 s[8:9], -1, 0
	s_cmp_eq_u32 s35, 0
	s_cselect_b64 s[12:13], -1, 0
	s_and_b64 s[0:1], s[12:13], exec
	s_cselect_b32 s10, 0, s40
	s_cselect_b32 s11, 0, s41
	s_or_b64 s[14:15], s[12:13], s[2:3]
	s_xor_b64 s[0:1], s[14:15], -1
	s_and_b64 vcc, exec, s[14:15]
	s_cbranch_vccnz .LBB17_2
; %bb.1:
	s_load_dword s7, s[38:39], 0x0
	s_mov_b64 s[10:11], s[40:41]
	s_waitcnt lgkmcnt(0)
	v_mov_b32_e32 v1, s7
	s_andn2_b64 vcc, exec, s[0:1]
	v_pk_mov_b32 v[2:3], s[10:11], s[10:11] op_sel:[0,1]
	s_cbranch_vccz .LBB17_3
	s_branch .LBB17_4
.LBB17_2:
	v_mov_b32_e32 v1, s38
	v_cndmask_b32_e64 v1, v1, 0, s[12:13]
	s_andn2_b64 vcc, exec, s[0:1]
	v_pk_mov_b32 v[2:3], s[10:11], s[10:11] op_sel:[0,1]
	s_cbranch_vccnz .LBB17_4
.LBB17_3:
	v_pk_mov_b32 v[2:3], s[40:41], s[40:41] op_sel:[0,1]
	flat_load_dwordx2 v[2:3], v[2:3]
.LBB17_4:
	v_cndmask_b32_e64 v4, 0, 1, s[8:9]
	s_mov_b32 s68, 0
	v_cmp_ne_u32_e64 s[0:1], 1, v4
	s_andn2_b64 vcc, exec, s[8:9]
	s_mov_b32 s35, 0
	s_cbranch_vccnz .LBB17_10
; %bb.5:
	s_xor_b64 s[8:9], s[2:3], -1
	v_cndmask_b32_e64 v4, 0, 1, s[8:9]
	v_cmp_ne_u32_e64 s[2:3], 1, v4
	s_andn2_b64 vcc, exec, s[8:9]
	s_mov_b32 s35, s42
	s_cbranch_vccnz .LBB17_7
; %bb.6:
	s_load_dword s35, s[42:43], 0x0
.LBB17_7:
	s_and_b64 vcc, exec, s[2:3]
	s_cbranch_vccnz .LBB17_9
; %bb.8:
	s_load_dword s43, s[42:43], 0x4
.LBB17_9:
	s_waitcnt lgkmcnt(0)
	s_mov_b32 s68, s43
.LBB17_10:
	s_load_dwordx4 s[28:31], s[4:5], 0x30
	s_load_dwordx2 s[38:39], s[4:5], 0x40
	s_mov_b32 s7, 0
	s_lshl_b64 s[2:3], s[6:7], 2
	s_waitcnt lgkmcnt(0)
	s_add_u32 s2, s30, s2
	s_addc_u32 s3, s31, s3
	s_load_dword s30, s[2:3], 0x0
	s_load_dwordx8 s[20:27], s[4:5], 0x8
	s_waitcnt lgkmcnt(0)
	s_ashr_i32 s31, s30, 31
	s_lshl_b64 s[40:41], s[30:31], 2
	s_add_u32 s2, s26, s40
	s_addc_u32 s3, s27, s41
	s_load_dword s44, s[2:3], 0x0
	s_waitcnt lgkmcnt(0)
	s_cmp_eq_u32 s44, -1
	s_cbranch_scc1 .LBB17_114
; %bb.11:
	s_add_u32 s2, s20, s40
	s_addc_u32 s3, s21, s41
	s_load_dwordx2 s[6:7], s[2:3], 0x0
	s_load_dwordx2 s[46:47], s[4:5], 0x0
	s_load_dword s31, s[4:5], 0x28
	s_mov_b64 s[42:43], 0
	s_waitcnt lgkmcnt(0)
	s_sub_i32 s48, s6, s34
	s_sub_i32 s33, s7, s34
	s_cmp_ge_i32 s48, s44
	s_cbranch_scc1 .LBB17_103
; %bb.12:
	v_bfe_u32 v23, v0, 10, 10
	s_cmp_lg_u32 s46, 0
	v_and_b32_e32 v22, 0x3ff, v0
	s_cselect_b64 s[50:51], -1, 0
	s_cmp_gt_i32 s31, 0
	v_lshlrev_b32_e32 v4, 4, v23
	s_cselect_b64 s[52:53], -1, 0
	v_add3_u32 v4, v4, v22, s48
	s_add_i32 s45, s47, 1
	v_ashrrev_i32_e32 v5, 31, v4
	s_add_u32 s69, s20, 4
	v_lshlrev_b64 v[6:7], 2, v[4:5]
	v_lshlrev_b32_e32 v8, 3, v22
	s_movk_i32 s47, 0x88
	s_addc_u32 s70, s21, 0
	s_mul_i32 s12, s31, s48
	v_mov_b32_e32 v5, s23
	v_add_co_u32_e32 v6, vcc, s22, v6
	v_mad_u32_u24 v24, v23, s47, v8
	s_add_u32 s71, s22, 0x100
	v_add_u32_e32 v9, s12, v22
	v_add_u32_e32 v31, 0x880, v8
	v_mbcnt_lo_u32_b32 v8, -1, 0
	v_cmp_gt_i32_e64 s[2:3], s31, v22
	v_cmp_le_i32_e64 s[4:5], s31, v22
	v_cmp_gt_i32_e64 s[6:7], s31, v23
	v_cmp_eq_u32_e64 s[8:9], 0, v23
	v_cmp_gt_i32_e64 s[10:11], s33, v4
	v_addc_co_u32_e32 v7, vcc, v5, v7, vcc
	v_add_u32_e32 v5, 5, v23
	v_add_u32_e32 v25, 0x880, v24
	s_addc_u32 s72, s23, 0
	v_mul_lo_u32 v26, s31, v9
	s_mul_i32 s73, s31, s31
	s_lshl_b32 s74, s31, 4
	v_mul_u32_u24_e32 v27, 0x88, v23
	v_add_u32_e32 v28, 0x908, v24
	v_mad_u32_u24 v29, v23, s47, s47
	v_sub_u32_e32 v30, -2, v23
	v_mov_b32_e32 v32, 0
	s_movk_i32 s75, 0x220
	s_movk_i32 s76, 0x54
	;; [unrolled: 1-line block ×3, first 2 shown]
	v_mbcnt_hi_u32_b32 v33, -1, v8
	s_branch .LBB17_15
.LBB17_13:                              ;   in Loop: Header=BB17_15 Depth=1
	s_mov_b64 s[42:43], -1
.LBB17_14:                              ;   in Loop: Header=BB17_15 Depth=1
	s_add_i32 s48, s48, 1
	s_cmp_lt_i32 s48, s44
	s_cselect_b64 s[12:13], -1, 0
	s_and_b64 s[12:13], s[20:21], s[12:13]
	v_add_u32_e32 v26, s73, v26
	s_and_b64 vcc, exec, s[12:13]
	s_cbranch_vccz .LBB17_103
.LBB17_15:                              ; =>This Loop Header: Depth=1
                                        ;     Child Loop BB17_18 Depth 2
                                        ;       Child Loop BB17_21 Depth 3
                                        ;     Child Loop BB17_27 Depth 2
                                        ;     Child Loop BB17_31 Depth 2
                                        ;       Child Loop BB17_34 Depth 3
                                        ;     Child Loop BB17_41 Depth 2
                                        ;       Child Loop BB17_44 Depth 3
                                        ;         Child Loop BB17_50 Depth 4
                                        ;         Child Loop BB17_55 Depth 4
                                        ;     Child Loop BB17_59 Depth 2
                                        ;       Child Loop BB17_62 Depth 3
                                        ;     Child Loop BB17_71 Depth 2
                                        ;       Child Loop BB17_76 Depth 3
                                        ;       Child Loop BB17_85 Depth 3
                                        ;         Child Loop BB17_88 Depth 4
                                        ;       Child Loop BB17_94 Depth 3
                                        ;         Child Loop BB17_97 Depth 4
                                        ;           Child Loop BB17_98 Depth 5
	s_ashr_i32 s49, s48, 31
	s_lshl_b64 s[12:13], s[48:49], 2
	s_add_u32 s12, s22, s12
	s_addc_u32 s13, s23, s13
	global_load_dword v8, v32, s[12:13]
	s_waitcnt vmcnt(0)
	v_readfirstlane_b32 s49, v8
	s_and_saveexec_b64 s[12:13], s[2:3]
	s_cbranch_execz .LBB17_25
; %bb.16:                               ;   in Loop: Header=BB17_15 Depth=1
	s_mul_i32 s54, s48, s31
	s_mov_b64 s[14:15], 0
	v_mov_b32_e32 v9, v25
	v_mov_b32_e32 v12, v26
	;; [unrolled: 1-line block ×3, first 2 shown]
	s_branch .LBB17_18
.LBB17_17:                              ;   in Loop: Header=BB17_18 Depth=2
	s_or_b64 exec, exec, s[16:17]
	v_add_u32_e32 v8, 16, v8
	v_cmp_le_i32_e32 vcc, s31, v8
	v_add_u32_e32 v12, s74, v12
	s_or_b64 s[14:15], vcc, s[14:15]
	v_add_u32_e32 v9, 0x80, v9
	s_andn2_b64 exec, exec, s[14:15]
	s_cbranch_execz .LBB17_25
.LBB17_18:                              ;   Parent Loop BB17_15 Depth=1
                                        ; =>  This Loop Header: Depth=2
                                        ;       Child Loop BB17_21 Depth 3
	s_and_saveexec_b64 s[16:17], s[6:7]
	s_cbranch_execz .LBB17_17
; %bb.19:                               ;   in Loop: Header=BB17_18 Depth=2
	s_mov_b64 s[18:19], 0
	v_mov_b32_e32 v13, v9
	v_mov_b32_e32 v14, v23
	s_branch .LBB17_21
.LBB17_20:                              ;   in Loop: Header=BB17_21 Depth=3
	v_ashrrev_i32_e32 v11, 31, v10
	v_lshlrev_b64 v[10:11], 3, v[10:11]
	v_mov_b32_e32 v15, s25
	v_add_co_u32_e32 v10, vcc, s24, v10
	v_addc_co_u32_e32 v11, vcc, v15, v11, vcc
	global_load_dwordx2 v[10:11], v[10:11], off
	v_add_u32_e32 v14, 4, v14
	v_cmp_le_i32_e32 vcc, s31, v14
	s_or_b64 s[18:19], vcc, s[18:19]
	s_waitcnt vmcnt(0)
	ds_write_b64 v13, v[10:11]
	v_add_u32_e32 v13, 0x220, v13
	s_andn2_b64 exec, exec, s[18:19]
	s_cbranch_execz .LBB17_17
.LBB17_21:                              ;   Parent Loop BB17_15 Depth=1
                                        ;     Parent Loop BB17_18 Depth=2
                                        ; =>    This Inner Loop Header: Depth=3
	s_and_b64 vcc, exec, s[50:51]
	s_cbranch_vccz .LBB17_23
; %bb.22:                               ;   in Loop: Header=BB17_21 Depth=3
	v_add_u32_e32 v10, s54, v14
	v_mad_u64_u32 v[10:11], s[20:21], v10, s31, v[8:9]
	s_cbranch_execnz .LBB17_20
	s_branch .LBB17_24
.LBB17_23:                              ;   in Loop: Header=BB17_21 Depth=3
                                        ; implicit-def: $vgpr10
.LBB17_24:                              ;   in Loop: Header=BB17_21 Depth=3
	v_add_u32_e32 v10, v12, v14
	s_branch .LBB17_20
.LBB17_25:                              ;   in Loop: Header=BB17_15 Depth=1
	s_or_b64 exec, exec, s[12:13]
	s_sub_i32 s12, s49, s34
	s_ashr_i32 s13, s12, 31
	s_lshl_b64 s[12:13], s[12:13], 2
	s_add_u32 s14, s26, s12
	s_addc_u32 s15, s27, s13
	global_load_dword v8, v32, s[14:15]
	s_waitcnt vmcnt(0)
	v_readfirstlane_b32 s49, v8
	v_cmp_eq_u32_e32 vcc, -1, v8
	s_cmp_lg_u32 s49, -1
	s_cselect_b64 s[20:21], -1, 0
	s_cbranch_vccnz .LBB17_13
; %bb.26:                               ;   in Loop: Header=BB17_15 Depth=1
	s_add_u32 s14, s69, s12
	s_addc_u32 s15, s70, s13
	global_load_dword v8, v32, s[14:15]
	s_add_u32 s12, s28, s12
	s_addc_u32 s13, s29, s13
	s_waitcnt vmcnt(0)
	v_readfirstlane_b32 s78, v8
.LBB17_27:                              ;   Parent Loop BB17_15 Depth=1
                                        ; =>  This Inner Loop Header: Depth=2
	global_load_dword v8, v32, s[12:13] glc
	s_waitcnt vmcnt(0)
	v_cmp_eq_u32_e32 vcc, 0, v8
	s_cbranch_vccnz .LBB17_27
; %bb.28:                               ;   in Loop: Header=BB17_15 Depth=1
	s_waitcnt lgkmcnt(0)
	buffer_wbinvl1_vol
	s_and_saveexec_b64 s[12:13], s[2:3]
	s_cbranch_execz .LBB17_38
; %bb.29:                               ;   in Loop: Header=BB17_15 Depth=1
	s_mul_i32 s56, s49, s31
	v_add_u32_e32 v8, s56, v22
	v_mul_lo_u32 v9, s31, v8
	s_mov_b64 s[14:15], 0
	v_mov_b32_e32 v12, v24
	v_mov_b32_e32 v8, v22
	s_branch .LBB17_31
.LBB17_30:                              ;   in Loop: Header=BB17_31 Depth=2
	s_or_b64 exec, exec, s[16:17]
	v_add_u32_e32 v8, 16, v8
	v_cmp_le_i32_e32 vcc, s31, v8
	v_add_u32_e32 v9, s74, v9
	s_or_b64 s[14:15], vcc, s[14:15]
	v_add_u32_e32 v12, 0x80, v12
	s_andn2_b64 exec, exec, s[14:15]
	s_cbranch_execz .LBB17_38
.LBB17_31:                              ;   Parent Loop BB17_15 Depth=1
                                        ; =>  This Loop Header: Depth=2
                                        ;       Child Loop BB17_34 Depth 3
	s_and_saveexec_b64 s[16:17], s[6:7]
	s_cbranch_execz .LBB17_30
; %bb.32:                               ;   in Loop: Header=BB17_31 Depth=2
	s_mov_b64 s[18:19], 0
	v_mov_b32_e32 v13, v12
	v_mov_b32_e32 v14, v23
	s_branch .LBB17_34
.LBB17_33:                              ;   in Loop: Header=BB17_34 Depth=3
	v_ashrrev_i32_e32 v11, 31, v10
	v_lshlrev_b64 v[10:11], 3, v[10:11]
	v_mov_b32_e32 v15, s25
	v_add_co_u32_e32 v10, vcc, s24, v10
	v_addc_co_u32_e32 v11, vcc, v15, v11, vcc
	global_load_dwordx2 v[10:11], v[10:11], off
	v_add_u32_e32 v14, 4, v14
	v_cmp_le_i32_e32 vcc, s31, v14
	s_or_b64 s[18:19], vcc, s[18:19]
	s_waitcnt vmcnt(0)
	ds_write_b64 v13, v[10:11]
	v_add_u32_e32 v13, 0x220, v13
	s_andn2_b64 exec, exec, s[18:19]
	s_cbranch_execz .LBB17_30
.LBB17_34:                              ;   Parent Loop BB17_15 Depth=1
                                        ;     Parent Loop BB17_31 Depth=2
                                        ; =>    This Inner Loop Header: Depth=3
	s_and_b64 vcc, exec, s[50:51]
	s_cbranch_vccz .LBB17_36
; %bb.35:                               ;   in Loop: Header=BB17_34 Depth=3
	v_add_u32_e32 v10, s56, v14
	v_mad_u64_u32 v[10:11], s[54:55], v10, s31, v[8:9]
	s_cbranch_execnz .LBB17_33
	s_branch .LBB17_37
.LBB17_36:                              ;   in Loop: Header=BB17_34 Depth=3
                                        ; implicit-def: $vgpr10
.LBB17_37:                              ;   in Loop: Header=BB17_34 Depth=3
	v_add_u32_e32 v10, v9, v14
	s_branch .LBB17_33
.LBB17_38:                              ;   in Loop: Header=BB17_15 Depth=1
	s_or_b64 exec, exec, s[12:13]
	s_andn2_b64 vcc, exec, s[52:53]
	s_waitcnt lgkmcnt(0)
	s_cbranch_vccnz .LBB17_56
; %bb.39:                               ;   in Loop: Header=BB17_15 Depth=1
	s_mov_b32 s79, 0
	s_mov_b32 s80, 0
	v_mov_b32_e32 v34, v30
	v_mov_b32_e32 v35, v5
	;; [unrolled: 1-line block ×4, first 2 shown]
	s_branch .LBB17_41
.LBB17_40:                              ;   in Loop: Header=BB17_41 Depth=2
	s_or_b64 exec, exec, s[54:55]
	s_add_i32 s80, s80, 1
	s_add_i32 s79, s79, 8
	v_add_u32_e32 v37, 0x88, v37
	v_add_u32_e32 v36, 0x90, v36
	;; [unrolled: 1-line block ×3, first 2 shown]
	s_cmp_eq_u32 s80, s31
	v_add_u32_e32 v34, -1, v34
	s_waitcnt lgkmcnt(0)
	s_cbranch_scc1 .LBB17_56
.LBB17_41:                              ;   Parent Loop BB17_15 Depth=1
                                        ; =>  This Loop Header: Depth=2
                                        ;       Child Loop BB17_44 Depth 3
                                        ;         Child Loop BB17_50 Depth 4
                                        ;         Child Loop BB17_55 Depth 4
	s_and_saveexec_b64 s[54:55], s[2:3]
	s_cbranch_execz .LBB17_40
; %bb.42:                               ;   in Loop: Header=BB17_41 Depth=2
	v_max_i32_e32 v8, s31, v35
	v_add_u32_e32 v8, v8, v34
	v_lshrrev_b32_e32 v8, 2, v8
	s_mul_i32 s81, s80, 0x88
	s_lshl_b32 s12, s80, 3
	v_add_u32_e32 v8, 1, v8
	s_add_i32 s12, s81, s12
	v_and_b32_e32 v38, 0x7ffffffe, v8
	v_mov_b32_e32 v8, s12
	ds_read_b64 v[8:9], v8
	v_add_u32_e32 v10, s80, v5
	v_max_i32_e32 v10, s31, v10
	v_add_u32_e32 v11, s80, v23
	v_sub_u32_e32 v10, v10, v11
	s_waitcnt lgkmcnt(0)
	v_mul_f32_e32 v12, v9, v9
	v_fmac_f32_e32 v12, v8, v8
	v_div_scale_f32 v13, s[12:13], v12, v12, 1.0
	v_rcp_f32_e32 v14, v13
	v_add_u32_e32 v15, -2, v10
	v_lshrrev_b32_e32 v16, 2, v15
	v_add_u32_e32 v17, 1, v16
	v_fma_f32 v10, -v13, v14, 1.0
	v_fmac_f32_e32 v14, v10, v14
	v_div_scale_f32 v10, vcc, 1.0, v12, 1.0
	v_mul_f32_e32 v18, v10, v14
	v_fma_f32 v19, -v13, v18, v10
	v_fmac_f32_e32 v18, v19, v14
	v_fma_f32 v10, -v13, v18, v10
	v_div_fmas_f32 v10, v10, v14, v18
	v_mul_hi_u32 v14, v16, s75
	v_div_fixup_f32 v10, v10, v12, 1.0
	v_add_u32_e32 v39, 1, v11
	v_cmp_ne_u32_e64 s[14:15], 0, v14
	v_and_b32_e32 v14, 0x7ffffffe, v17
	v_cmp_gt_i32_e32 vcc, s31, v39
	v_mov_b32_e32 v11, v10
	v_mov_b32_e32 v12, v8
	v_mov_b32_e32 v13, v8
	v_mov_b32_e32 v8, v9
	v_add_u32_e32 v40, s81, v25
	v_cmp_gt_u32_e64 s[56:57], s76, v15
	v_cmp_lt_u32_e64 s[12:13], s77, v15
	v_mul_lo_u32 v41, v16, s75
	s_mov_b32 s82, 0
	v_lshl_add_u32 v42, v14, 2, v39
	v_cmp_ne_u32_e64 s[16:17], v17, v14
	s_mov_b64 s[58:59], 0
	v_mov_b32_e32 v43, v31
	v_mov_b32_e32 v44, v37
	;; [unrolled: 1-line block ×3, first 2 shown]
	s_branch .LBB17_44
.LBB17_43:                              ;   in Loop: Header=BB17_44 Depth=3
	s_or_b64 exec, exec, s[60:61]
	v_add_u32_e32 v45, 16, v45
	s_add_i32 s82, s82, 1
	v_cmp_le_i32_e64 s[18:19], s31, v45
	v_add_u32_e32 v44, 0x80, v44
	s_or_b64 s[58:59], s[18:19], s[58:59]
	v_add_u32_e32 v43, 0x80, v43
	s_andn2_b64 exec, exec, s[58:59]
	s_cbranch_execz .LBB17_40
.LBB17_44:                              ;   Parent Loop BB17_15 Depth=1
                                        ;     Parent Loop BB17_41 Depth=2
                                        ; =>    This Loop Header: Depth=3
                                        ;         Child Loop BB17_50 Depth 4
                                        ;         Child Loop BB17_55 Depth 4
	v_lshl_add_u32 v16, v45, 3, s81
	ds_read_b64 v[14:15], v16 offset:2176
	s_waitcnt lgkmcnt(0)
	v_pk_mul_f32 v[18:19], v[8:9], v[14:15] op_sel:[0,1] op_sel_hi:[1,0] neg_hi:[0,1]
	v_pk_fma_f32 v[14:15], v[14:15], v[12:13], v[18:19]
	v_pk_mul_f32 v[14:15], v[10:11], v[14:15]
	s_and_saveexec_b64 s[18:19], s[8:9]
	s_cbranch_execz .LBB17_46
; %bb.45:                               ;   in Loop: Header=BB17_44 Depth=3
	v_add_u32_e32 v16, 0x880, v16
	ds_write_b64 v16, v[14:15]
.LBB17_46:                              ;   in Loop: Header=BB17_44 Depth=3
	s_or_b64 exec, exec, s[18:19]
	s_and_saveexec_b64 s[60:61], vcc
	s_cbranch_execz .LBB17_43
; %bb.47:                               ;   in Loop: Header=BB17_44 Depth=3
	s_mov_b64 s[18:19], s[56:57]
	v_mov_b32_e32 v18, v39
	s_and_saveexec_b64 s[62:63], s[12:13]
	s_cbranch_execz .LBB17_53
; %bb.48:                               ;   in Loop: Header=BB17_44 Depth=3
	v_lshl_add_u32 v16, s82, 7, v40
	v_add_u32_e32 v17, 0x8c, v16
	v_add_u32_e32 v18, 0x88, v16
	;; [unrolled: 1-line block ×4, first 2 shown]
	v_cmp_lt_u32_e64 s[18:19], v19, v17
	v_add_u32_e32 v16, 0x88, v16
	s_or_b64 s[64:65], s[18:19], s[14:15]
	v_cmp_lt_u32_e64 s[18:19], v16, v18
	s_or_b64 s[18:19], s[18:19], s[14:15]
	s_or_b64 s[64:65], s[64:65], s[18:19]
	s_mov_b64 s[18:19], -1
	s_xor_b64 s[66:67], s[64:65], -1
	v_mov_b32_e32 v18, v39
	s_and_saveexec_b64 s[64:65], s[66:67]
	s_cbranch_execz .LBB17_52
; %bb.49:                               ;   in Loop: Header=BB17_44 Depth=3
	v_xor_b32_e32 v16, 0x80000000, v14
	v_xor_b32_e32 v20, 0x80000000, v15
	v_mov_b32_e32 v17, v16
	v_mov_b32_e32 v18, v15
	;; [unrolled: 1-line block ×4, first 2 shown]
	s_mov_b64 s[66:67], 0
	v_mov_b32_e32 v46, v38
	v_mov_b32_e32 v47, v36
	;; [unrolled: 1-line block ×3, first 2 shown]
.LBB17_50:                              ;   Parent Loop BB17_15 Depth=1
                                        ;     Parent Loop BB17_41 Depth=2
                                        ;       Parent Loop BB17_44 Depth=3
                                        ; =>      This Inner Loop Header: Depth=4
	ds_read2_b64 v[50:53], v47 offset1:68
	ds_read2_b64 v[54:57], v48 offset1:68
	v_add_u32_e32 v46, -2, v46
	v_cmp_eq_u32_e64 s[18:19], 0, v46
	s_or_b64 s[66:67], s[18:19], s[66:67]
	s_waitcnt lgkmcnt(1)
	v_mov_b32_e32 v58, v50
	v_mov_b32_e32 v59, v52
	;; [unrolled: 1-line block ×3, first 2 shown]
	s_waitcnt lgkmcnt(0)
	v_mov_b32_e32 v50, v54
	v_mov_b32_e32 v51, v56
	;; [unrolled: 1-line block ×3, first 2 shown]
	v_pk_fma_f32 v[50:51], v[16:17], v[58:59], v[50:51]
	v_pk_fma_f32 v[54:55], v[20:21], v[58:59], v[56:57]
	;; [unrolled: 1-line block ×4, first 2 shown]
	v_mov_b32_e32 v54, v50
	v_mov_b32_e32 v55, v52
	;; [unrolled: 1-line block ×3, first 2 shown]
	ds_write2_b64 v48, v[54:55], v[52:53] offset1:68
	v_add_u32_e32 v48, 0x440, v48
	v_add_u32_e32 v47, 0x440, v47
	s_andn2_b64 exec, exec, s[66:67]
	s_cbranch_execnz .LBB17_50
; %bb.51:                               ;   in Loop: Header=BB17_44 Depth=3
	s_or_b64 exec, exec, s[66:67]
	s_orn2_b64 s[18:19], s[16:17], exec
	v_mov_b32_e32 v18, v42
.LBB17_52:                              ;   in Loop: Header=BB17_44 Depth=3
	s_or_b64 exec, exec, s[64:65]
	s_andn2_b64 s[64:65], s[56:57], exec
	s_and_b64 s[18:19], s[18:19], exec
	s_or_b64 s[18:19], s[64:65], s[18:19]
.LBB17_53:                              ;   in Loop: Header=BB17_44 Depth=3
	s_or_b64 exec, exec, s[62:63]
	s_and_b64 exec, exec, s[18:19]
	s_cbranch_execz .LBB17_43
; %bb.54:                               ;   in Loop: Header=BB17_44 Depth=3
	v_xor_b32_e32 v17, 0x80000000, v14
	v_mov_b32_e32 v16, v15
	v_mul_lo_u32 v19, v18, s47
	s_mov_b64 s[62:63], 0
.LBB17_55:                              ;   Parent Loop BB17_15 Depth=1
                                        ;     Parent Loop BB17_41 Depth=2
                                        ;       Parent Loop BB17_44 Depth=3
                                        ; =>      This Inner Loop Header: Depth=4
	v_add_u32_e32 v20, s79, v19
	v_add_u32_e32 v48, v43, v19
	ds_read_b64 v[20:21], v20
	ds_read_b64 v[46:47], v48
	v_add_u32_e32 v18, 4, v18
	v_cmp_le_i32_e64 s[18:19], s31, v18
	v_add_u32_e32 v19, 0x220, v19
	s_or_b64 s[62:63], s[18:19], s[62:63]
	s_waitcnt lgkmcnt(0)
	v_pk_fma_f32 v[46:47], v[14:15], v[20:21], v[46:47] op_sel_hi:[1,0,1] neg_lo:[1,0,0] neg_hi:[1,0,0]
	v_pk_fma_f32 v[20:21], v[16:17], v[20:21], v[46:47] op_sel:[0,1,0]
	ds_write_b64 v48, v[20:21]
	s_andn2_b64 exec, exec, s[62:63]
	s_cbranch_execnz .LBB17_55
	s_branch .LBB17_43
.LBB17_56:                              ;   in Loop: Header=BB17_15 Depth=1
	s_and_saveexec_b64 s[12:13], s[2:3]
	s_cbranch_execz .LBB17_66
; %bb.57:                               ;   in Loop: Header=BB17_15 Depth=1
	s_mul_i32 s56, s48, s31
	s_mov_b64 s[14:15], 0
	v_mov_b32_e32 v9, v25
	v_mov_b32_e32 v12, v26
	;; [unrolled: 1-line block ×3, first 2 shown]
	s_branch .LBB17_59
.LBB17_58:                              ;   in Loop: Header=BB17_59 Depth=2
	s_or_b64 exec, exec, s[16:17]
	v_add_u32_e32 v8, 16, v8
	v_cmp_le_i32_e32 vcc, s31, v8
	v_add_u32_e32 v12, s74, v12
	s_or_b64 s[14:15], vcc, s[14:15]
	v_add_u32_e32 v9, 0x80, v9
	s_andn2_b64 exec, exec, s[14:15]
	s_cbranch_execz .LBB17_66
.LBB17_59:                              ;   Parent Loop BB17_15 Depth=1
                                        ; =>  This Loop Header: Depth=2
                                        ;       Child Loop BB17_62 Depth 3
	s_and_saveexec_b64 s[16:17], s[6:7]
	s_cbranch_execz .LBB17_58
; %bb.60:                               ;   in Loop: Header=BB17_59 Depth=2
	s_mov_b64 s[18:19], 0
	v_mov_b32_e32 v13, v9
	v_mov_b32_e32 v14, v23
	s_branch .LBB17_62
.LBB17_61:                              ;   in Loop: Header=BB17_62 Depth=3
	v_ashrrev_i32_e32 v11, 31, v10
	v_lshlrev_b64 v[10:11], 3, v[10:11]
	ds_read_b64 v[16:17], v13
	v_mov_b32_e32 v15, s25
	v_add_co_u32_e32 v10, vcc, s24, v10
	v_addc_co_u32_e32 v11, vcc, v15, v11, vcc
	v_add_u32_e32 v14, 4, v14
	v_cmp_le_i32_e32 vcc, s31, v14
	s_or_b64 s[18:19], vcc, s[18:19]
	v_add_u32_e32 v13, 0x220, v13
	s_waitcnt lgkmcnt(0)
	global_store_dwordx2 v[10:11], v[16:17], off
	s_andn2_b64 exec, exec, s[18:19]
	s_cbranch_execz .LBB17_58
.LBB17_62:                              ;   Parent Loop BB17_15 Depth=1
                                        ;     Parent Loop BB17_59 Depth=2
                                        ; =>    This Inner Loop Header: Depth=3
	s_and_b64 vcc, exec, s[50:51]
	s_cbranch_vccz .LBB17_64
; %bb.63:                               ;   in Loop: Header=BB17_62 Depth=3
	v_add_u32_e32 v10, s56, v14
	v_mad_u64_u32 v[10:11], s[54:55], v10, s31, v[8:9]
	s_cbranch_execnz .LBB17_61
	s_branch .LBB17_65
.LBB17_64:                              ;   in Loop: Header=BB17_62 Depth=3
                                        ; implicit-def: $vgpr10
.LBB17_65:                              ;   in Loop: Header=BB17_62 Depth=3
	v_add_u32_e32 v10, v12, v14
	s_branch .LBB17_61
.LBB17_66:                              ;   in Loop: Header=BB17_15 Depth=1
	s_or_b64 exec, exec, s[12:13]
	s_sub_i32 s58, s78, s34
	s_add_i32 s12, s49, 1
	s_cmp_ge_i32 s12, s58
	s_cbranch_scc1 .LBB17_14
; %bb.67:                               ;   in Loop: Header=BB17_15 Depth=1
	s_mul_i32 s13, s31, s12
	v_add_u32_e32 v8, s13, v22
	v_mul_lo_u32 v14, s31, v8
	s_branch .LBB17_71
.LBB17_68:                              ;   in Loop: Header=BB17_71 Depth=2
	s_or_b64 exec, exec, s[16:17]
.LBB17_69:                              ;   in Loop: Header=BB17_71 Depth=2
	s_or_b64 exec, exec, s[14:15]
.LBB17_70:                              ;   in Loop: Header=BB17_71 Depth=2
	s_add_i32 s12, s12, 1
	s_cmp_lt_i32 s12, s58
	v_add_u32_e32 v14, s73, v14
	s_waitcnt lgkmcnt(0)
	s_cbranch_scc0 .LBB17_14
.LBB17_71:                              ;   Parent Loop BB17_15 Depth=1
                                        ; =>  This Loop Header: Depth=2
                                        ;       Child Loop BB17_76 Depth 3
                                        ;       Child Loop BB17_85 Depth 3
                                        ;         Child Loop BB17_88 Depth 4
                                        ;       Child Loop BB17_94 Depth 3
                                        ;         Child Loop BB17_97 Depth 4
                                        ;           Child Loop BB17_98 Depth 5
	s_ashr_i32 s13, s12, 31
	s_lshl_b64 s[14:15], s[12:13], 2
	s_add_u32 s14, s22, s14
	s_addc_u32 s15, s23, s15
	global_load_dword v8, v32, s[14:15]
	v_mov_b32_e32 v9, s45
	s_and_saveexec_b64 s[14:15], s[10:11]
	s_cbranch_execz .LBB17_73
; %bb.72:                               ;   in Loop: Header=BB17_71 Depth=2
	global_load_dword v9, v[6:7], off
	s_waitcnt vmcnt(0)
	v_subrev_u32_e32 v9, s34, v9
.LBB17_73:                              ;   in Loop: Header=BB17_71 Depth=2
	s_or_b64 exec, exec, s[14:15]
	s_waitcnt vmcnt(0)
	v_subrev_u32_e32 v10, s34, v8
	v_cmp_lt_i32_e32 vcc, v9, v10
	v_mov_b32_e32 v11, v4
	s_and_saveexec_b64 s[14:15], vcc
	s_cbranch_execz .LBB17_79
; %bb.74:                               ;   in Loop: Header=BB17_71 Depth=2
	s_mov_b64 s[16:17], 0
	v_mov_b32_e32 v8, v4
	s_branch .LBB17_76
.LBB17_75:                              ;   in Loop: Header=BB17_76 Depth=3
	s_or_b64 exec, exec, s[18:19]
	v_cmp_ge_i32_e32 vcc, v9, v10
	s_or_b64 s[16:17], vcc, s[16:17]
	v_mov_b32_e32 v8, v11
	s_andn2_b64 exec, exec, s[16:17]
	s_cbranch_execz .LBB17_78
.LBB17_76:                              ;   Parent Loop BB17_15 Depth=1
                                        ;     Parent Loop BB17_71 Depth=2
                                        ; =>    This Inner Loop Header: Depth=3
	v_add_u32_e32 v11, 64, v8
	v_cmp_gt_i32_e32 vcc, s33, v11
	v_mov_b32_e32 v9, s45
	s_and_saveexec_b64 s[18:19], vcc
	s_cbranch_execz .LBB17_75
; %bb.77:                               ;   in Loop: Header=BB17_76 Depth=3
	v_ashrrev_i32_e32 v9, 31, v8
	v_lshlrev_b64 v[8:9], 2, v[8:9]
	v_mov_b32_e32 v12, s72
	v_add_co_u32_e32 v8, vcc, s71, v8
	v_addc_co_u32_e32 v9, vcc, v12, v9, vcc
	global_load_dword v8, v[8:9], off
	s_waitcnt vmcnt(0)
	v_subrev_u32_e32 v9, s34, v8
	s_branch .LBB17_75
.LBB17_78:                              ;   in Loop: Header=BB17_71 Depth=2
	s_or_b64 exec, exec, s[16:17]
.LBB17_79:                              ;   in Loop: Header=BB17_71 Depth=2
	s_or_b64 exec, exec, s[14:15]
	v_cmp_eq_u32_e32 vcc, v9, v10
	s_cbranch_vccz .LBB17_70
; %bb.80:                               ;   in Loop: Header=BB17_71 Depth=2
	s_ff1_i32_b64 s13, vcc
	v_and_or_b32 v8, v33, 64, s13
	v_lshlrev_b32_e32 v8, 2, v8
	ds_bpermute_b32 v9, v8, v11
	s_and_saveexec_b64 s[14:15], s[4:5]
	s_xor_b64 s[14:15], exec, s[14:15]
	s_cbranch_execz .LBB17_82
; %bb.81:                               ;   in Loop: Header=BB17_71 Depth=2
	s_waitcnt lgkmcnt(0)
                                        ; implicit-def: $vgpr9
.LBB17_82:                              ;   in Loop: Header=BB17_71 Depth=2
	s_andn2_saveexec_b64 s[14:15], s[14:15]
	s_cbranch_execz .LBB17_69
; %bb.83:                               ;   in Loop: Header=BB17_71 Depth=2
	s_mul_i32 s13, s12, s31
	s_mov_b64 s[16:17], 0
	v_mov_b32_e32 v12, v24
	v_mov_b32_e32 v13, v14
	;; [unrolled: 1-line block ×3, first 2 shown]
	s_branch .LBB17_85
.LBB17_84:                              ;   in Loop: Header=BB17_85 Depth=3
	s_or_b64 exec, exec, s[18:19]
	v_add_u32_e32 v8, 16, v8
	v_cmp_le_i32_e32 vcc, s31, v8
	v_add_u32_e32 v13, s74, v13
	s_or_b64 s[16:17], vcc, s[16:17]
	v_add_u32_e32 v12, 0x80, v12
	s_andn2_b64 exec, exec, s[16:17]
	s_cbranch_execz .LBB17_92
.LBB17_85:                              ;   Parent Loop BB17_15 Depth=1
                                        ;     Parent Loop BB17_71 Depth=2
                                        ; =>    This Loop Header: Depth=3
                                        ;         Child Loop BB17_88 Depth 4
	s_and_saveexec_b64 s[18:19], s[6:7]
	s_cbranch_execz .LBB17_84
; %bb.86:                               ;   in Loop: Header=BB17_85 Depth=3
	s_mov_b64 s[54:55], 0
	v_mov_b32_e32 v15, v12
	v_mov_b32_e32 v16, v23
	s_branch .LBB17_88
.LBB17_87:                              ;   in Loop: Header=BB17_88 Depth=4
	v_ashrrev_i32_e32 v11, 31, v10
	v_lshlrev_b64 v[10:11], 3, v[10:11]
	v_mov_b32_e32 v17, s25
	v_add_co_u32_e32 v10, vcc, s24, v10
	v_addc_co_u32_e32 v11, vcc, v17, v11, vcc
	global_load_dwordx2 v[10:11], v[10:11], off
	v_add_u32_e32 v16, 4, v16
	v_cmp_le_i32_e32 vcc, s31, v16
	s_or_b64 s[54:55], vcc, s[54:55]
	s_waitcnt vmcnt(0)
	ds_write_b64 v15, v[10:11]
	v_add_u32_e32 v15, 0x220, v15
	s_andn2_b64 exec, exec, s[54:55]
	s_cbranch_execz .LBB17_84
.LBB17_88:                              ;   Parent Loop BB17_15 Depth=1
                                        ;     Parent Loop BB17_71 Depth=2
                                        ;       Parent Loop BB17_85 Depth=3
                                        ; =>      This Inner Loop Header: Depth=4
	s_and_b64 vcc, exec, s[50:51]
	s_cbranch_vccz .LBB17_90
; %bb.89:                               ;   in Loop: Header=BB17_88 Depth=4
	v_add_u32_e32 v10, s13, v16
	s_waitcnt lgkmcnt(0)
	v_mad_u64_u32 v[10:11], s[56:57], v10, s31, v[8:9]
	s_cbranch_execnz .LBB17_87
	s_branch .LBB17_91
.LBB17_90:                              ;   in Loop: Header=BB17_88 Depth=4
                                        ; implicit-def: $vgpr10
.LBB17_91:                              ;   in Loop: Header=BB17_88 Depth=4
	v_add_u32_e32 v10, v13, v16
	s_branch .LBB17_87
.LBB17_92:                              ;   in Loop: Header=BB17_71 Depth=2
	s_or_b64 exec, exec, s[16:17]
	s_waitcnt lgkmcnt(0)
	v_mul_lo_u32 v9, v9, s31
	s_mov_b64 s[16:17], 0
	v_mov_b32_e32 v15, v31
	v_mov_b32_e32 v8, v22
	s_branch .LBB17_94
.LBB17_93:                              ;   in Loop: Header=BB17_94 Depth=3
	s_or_b64 exec, exec, s[18:19]
	v_add_u32_e32 v8, 16, v8
	v_cmp_le_i32_e32 vcc, s31, v8
	s_or_b64 s[16:17], vcc, s[16:17]
	v_add_u32_e32 v15, 0x80, v15
	s_andn2_b64 exec, exec, s[16:17]
	s_cbranch_execz .LBB17_68
.LBB17_94:                              ;   Parent Loop BB17_15 Depth=1
                                        ;     Parent Loop BB17_71 Depth=2
                                        ; =>    This Loop Header: Depth=3
                                        ;         Child Loop BB17_97 Depth 4
                                        ;           Child Loop BB17_98 Depth 5
	s_and_saveexec_b64 s[18:19], s[6:7]
	s_cbranch_execz .LBB17_93
; %bb.95:                               ;   in Loop: Header=BB17_94 Depth=3
	v_add_u32_e32 v10, v8, v9
	v_mul_lo_u32 v16, v10, s31
	s_mov_b64 s[54:55], 0
	v_mov_b32_e32 v17, v27
	v_mov_b32_e32 v18, v23
	s_branch .LBB17_97
.LBB17_96:                              ;   in Loop: Header=BB17_97 Depth=4
	v_ashrrev_i32_e32 v13, 31, v12
	v_lshlrev_b64 v[12:13], 3, v[12:13]
	v_mov_b32_e32 v19, s25
	v_add_co_u32_e32 v12, vcc, s24, v12
	v_addc_co_u32_e32 v13, vcc, v19, v13, vcc
	global_load_dwordx2 v[20:21], v[12:13], off
	v_add_u32_e32 v18, 4, v18
	v_cmp_le_i32_e32 vcc, s31, v18
	s_or_b64 s[54:55], vcc, s[54:55]
	v_add_u32_e32 v17, 0x220, v17
	s_waitcnt vmcnt(0)
	v_pk_add_f32 v[10:11], v[20:21], v[10:11] neg_lo:[0,1] neg_hi:[0,1]
	global_store_dwordx2 v[12:13], v[10:11], off
	s_andn2_b64 exec, exec, s[54:55]
	s_cbranch_execz .LBB17_93
.LBB17_97:                              ;   Parent Loop BB17_15 Depth=1
                                        ;     Parent Loop BB17_71 Depth=2
                                        ;       Parent Loop BB17_94 Depth=3
                                        ; =>      This Loop Header: Depth=4
                                        ;           Child Loop BB17_98 Depth 5
	v_mov_b32_e32 v10, 0
	v_mov_b32_e32 v12, v15
	;; [unrolled: 1-line block ×3, first 2 shown]
	s_mov_b32 s13, s31
	v_mov_b32_e32 v11, v10
.LBB17_98:                              ;   Parent Loop BB17_15 Depth=1
                                        ;     Parent Loop BB17_71 Depth=2
                                        ;       Parent Loop BB17_94 Depth=3
                                        ;         Parent Loop BB17_97 Depth=4
                                        ; =>        This Inner Loop Header: Depth=5
	ds_read_b64 v[20:21], v13
	ds_read_b64 v[34:35], v12
	s_add_i32 s13, s13, -1
	v_add_u32_e32 v13, 8, v13
	v_add_u32_e32 v12, 0x88, v12
	s_cmp_eq_u32 s13, 0
	s_waitcnt lgkmcnt(0)
	v_pk_fma_f32 v[10:11], v[34:35], v[20:21], v[10:11] op_sel_hi:[1,0,1]
	v_pk_fma_f32 v[10:11], v[34:35], v[20:21], v[10:11] op_sel:[1,1,0] op_sel_hi:[0,1,1] neg_lo:[1,0,0]
	s_cbranch_scc0 .LBB17_98
; %bb.99:                               ;   in Loop: Header=BB17_97 Depth=4
	s_and_b64 vcc, exec, s[50:51]
	s_cbranch_vccz .LBB17_101
; %bb.100:                              ;   in Loop: Header=BB17_97 Depth=4
	v_add_u32_e32 v12, v18, v9
	v_mad_u64_u32 v[12:13], s[56:57], v12, s31, v[8:9]
	s_cbranch_execnz .LBB17_96
	s_branch .LBB17_102
.LBB17_101:                             ;   in Loop: Header=BB17_97 Depth=4
                                        ; implicit-def: $vgpr12
.LBB17_102:                             ;   in Loop: Header=BB17_97 Depth=4
	v_add_u32_e32 v12, v18, v16
	s_branch .LBB17_96
.LBB17_103:
	s_ashr_i32 s45, s44, 31
	s_lshl_b64 s[2:3], s[44:45], 2
	s_add_u32 s2, s22, s2
	s_addc_u32 s3, s23, s3
	v_mov_b32_e32 v4, 0
	global_load_dword v4, v4, s[2:3]
	s_waitcnt vmcnt(0)
	v_subrev_u32_e32 v4, s34, v4
	v_cmp_ne_u32_e32 vcc, s30, v4
	s_cbranch_vccnz .LBB17_154
; %bb.104:
	v_and_b32_e32 v4, 0x3ff, v0
	v_cmp_gt_i32_e64 s[2:3], s31, v4
	v_lshlrev_b32_e32 v5, 3, v4
	s_and_saveexec_b64 s[6:7], s[2:3]
	s_cbranch_execz .LBB17_115
; %bb.105:
	s_mul_i32 s18, s44, s31
	v_add_u32_e32 v6, s18, v4
	v_bfe_u32 v7, v0, 10, 10
	s_cmp_lg_u32 s46, 0
	v_mul_lo_u32 v10, s31, v6
	v_lshlrev_b32_e32 v6, 3, v4
	s_movk_i32 s10, 0x88
	v_cmp_gt_u32_e64 s[4:5], s31, v7
	s_cselect_b64 s[8:9], -1, 0
	s_lshl_b32 s19, s31, 4
	v_mad_u32_u24 v11, v7, s10, v6
	s_mov_b64 s[10:11], 0
	v_mov_b32_e32 v6, v4
	s_branch .LBB17_107
.LBB17_106:                             ;   in Loop: Header=BB17_107 Depth=1
	s_or_b64 exec, exec, s[12:13]
	v_add_u32_e32 v6, 16, v6
	v_cmp_le_i32_e32 vcc, s31, v6
	v_add_u32_e32 v10, s19, v10
	s_or_b64 s[10:11], vcc, s[10:11]
	v_add_u32_e32 v11, 0x80, v11
	s_andn2_b64 exec, exec, s[10:11]
	s_cbranch_execz .LBB17_115
.LBB17_107:                             ; =>This Loop Header: Depth=1
                                        ;     Child Loop BB17_110 Depth 2
	s_and_saveexec_b64 s[12:13], s[4:5]
	s_cbranch_execz .LBB17_106
; %bb.108:                              ;   in Loop: Header=BB17_107 Depth=1
	s_mov_b64 s[14:15], 0
	v_mov_b32_e32 v12, v11
	v_mov_b32_e32 v13, v7
	s_branch .LBB17_110
.LBB17_109:                             ;   in Loop: Header=BB17_110 Depth=2
	v_ashrrev_i32_e32 v9, 31, v8
	v_lshlrev_b64 v[8:9], 3, v[8:9]
	v_mov_b32_e32 v14, s25
	v_add_co_u32_e32 v8, vcc, s24, v8
	v_addc_co_u32_e32 v9, vcc, v14, v9, vcc
	global_load_dwordx2 v[8:9], v[8:9], off
	v_add_u32_e32 v13, 4, v13
	v_cmp_le_i32_e32 vcc, s31, v13
	s_or_b64 s[14:15], vcc, s[14:15]
	s_waitcnt vmcnt(0)
	ds_write_b64 v12, v[8:9]
	v_add_u32_e32 v12, 0x220, v12
	s_andn2_b64 exec, exec, s[14:15]
	s_cbranch_execz .LBB17_106
.LBB17_110:                             ;   Parent Loop BB17_107 Depth=1
                                        ; =>  This Inner Loop Header: Depth=2
	s_and_b64 vcc, exec, s[8:9]
	s_cbranch_vccz .LBB17_112
; %bb.111:                              ;   in Loop: Header=BB17_110 Depth=2
	v_add_u32_e32 v8, s18, v13
	v_mad_u64_u32 v[8:9], s[16:17], v8, s31, v[6:7]
	s_cbranch_execnz .LBB17_109
	s_branch .LBB17_113
.LBB17_112:                             ;   in Loop: Header=BB17_110 Depth=2
                                        ; implicit-def: $vgpr8
.LBB17_113:                             ;   in Loop: Header=BB17_110 Depth=2
	v_add_u32_e32 v8, v10, v13
	s_branch .LBB17_109
.LBB17_114:
	s_mov_b64 s[42:43], -1
	s_branch .LBB17_187
.LBB17_115:
	s_or_b64 exec, exec, s[6:7]
	s_cmp_lt_i32 s31, 1
	s_waitcnt lgkmcnt(0)
	s_cbranch_scc1 .LBB17_143
; %bb.116:
	s_cmp_eq_u64 s[36:37], 8
	v_cvt_f64_f32_e32 v[6:7], v1
	s_cselect_b64 vcc, -1, 0
	v_bfe_u32 v1, v0, 10, 10
	v_cndmask_b32_e32 v2, v6, v2, vcc
	v_or_b32_e32 v6, v4, v1
	s_movk_i32 s8, 0x88
	v_cndmask_b32_e32 v3, v7, v3, vcc
	s_mov_b32 s19, 0
	v_cmp_eq_u32_e64 s[4:5], 0, v6
	v_cmp_eq_u32_e64 s[6:7], 0, v1
	v_mad_u32_u24 v16, v1, s8, s8
	s_mov_b32 s18, 0xf800000
	v_mov_b32_e32 v17, 0x260
.LBB17_117:                             ; =>This Loop Header: Depth=1
                                        ;     Child Loop BB17_135 Depth 2
                                        ;       Child Loop BB17_139 Depth 3
	s_lshl_b32 s8, s19, 3
	s_mul_i32 s20, s19, 0x88
	s_add_i32 s12, s20, s8
	v_mov_b32_e32 v6, s12
	s_waitcnt lgkmcnt(0)
	ds_read_b64 v[8:9], v6
	s_and_b64 vcc, exec, s[0:1]
	s_mov_b64 s[10:11], 0
	s_cbranch_vccnz .LBB17_122
; %bb.118:                              ;   in Loop: Header=BB17_117 Depth=1
	s_waitcnt lgkmcnt(0)
	v_cmp_gt_f32_e32 vcc, 0, v8
	v_cndmask_b32_e64 v6, v8, -v8, vcc
	v_cmp_gt_f32_e32 vcc, 0, v9
	v_cndmask_b32_e64 v7, v9, -v9, vcc
	v_cmp_ngt_f32_e32 vcc, v6, v7
	s_cbranch_vccz .LBB17_123
; %bb.119:                              ;   in Loop: Header=BB17_117 Depth=1
	v_cmp_eq_f32_e32 vcc, 0, v9
	v_mov_b32_e32 v10, 0
	s_cbranch_vccnz .LBB17_121
; %bb.120:                              ;   in Loop: Header=BB17_117 Depth=1
	v_div_scale_f32 v10, s[8:9], v7, v7, v6
	v_rcp_f32_e32 v11, v10
	v_div_scale_f32 v12, vcc, v6, v7, v6
	v_fma_f32 v13, -v10, v11, 1.0
	v_fmac_f32_e32 v11, v13, v11
	v_mul_f32_e32 v13, v12, v11
	v_fma_f32 v14, -v10, v13, v12
	v_fmac_f32_e32 v13, v14, v11
	v_fma_f32 v10, -v10, v13, v12
	v_div_fmas_f32 v10, v10, v11, v13
	v_div_fixup_f32 v10, v10, v7, v6
	v_fma_f32 v10, v10, v10, 1.0
	v_mul_f32_e32 v11, 0x4f800000, v10
	v_cmp_gt_f32_e32 vcc, s18, v10
	v_cndmask_b32_e32 v10, v10, v11, vcc
	v_sqrt_f32_e32 v11, v10
	v_add_u32_e32 v12, -1, v11
	v_fma_f32 v13, -v12, v11, v10
	v_cmp_ge_f32_e64 s[8:9], 0, v13
	v_add_u32_e32 v13, 1, v11
	v_cndmask_b32_e64 v12, v11, v12, s[8:9]
	v_fma_f32 v11, -v13, v11, v10
	v_cmp_lt_f32_e64 s[8:9], 0, v11
	v_cndmask_b32_e64 v11, v12, v13, s[8:9]
	v_mul_f32_e32 v12, 0x37800000, v11
	v_cndmask_b32_e32 v11, v11, v12, vcc
	v_cmp_class_f32_e32 vcc, v10, v17
	v_cndmask_b32_e32 v10, v11, v10, vcc
	v_mul_f32_e32 v10, v7, v10
.LBB17_121:                             ;   in Loop: Header=BB17_117 Depth=1
	s_cbranch_execz .LBB17_124
	s_branch .LBB17_125
.LBB17_122:                             ;   in Loop: Header=BB17_117 Depth=1
                                        ; implicit-def: $vgpr6_vgpr7
	s_mov_b64 s[8:9], 0
	s_cbranch_execnz .LBB17_128
	s_branch .LBB17_129
.LBB17_123:                             ;   in Loop: Header=BB17_117 Depth=1
                                        ; implicit-def: $vgpr10
.LBB17_124:                             ;   in Loop: Header=BB17_117 Depth=1
	v_div_scale_f32 v10, s[8:9], v6, v6, v7
	v_rcp_f32_e32 v11, v10
	v_div_scale_f32 v12, vcc, v7, v6, v7
	v_fma_f32 v13, -v10, v11, 1.0
	v_fmac_f32_e32 v11, v13, v11
	v_mul_f32_e32 v13, v12, v11
	v_fma_f32 v14, -v10, v13, v12
	v_fmac_f32_e32 v13, v14, v11
	v_fma_f32 v10, -v10, v13, v12
	v_div_fmas_f32 v10, v10, v11, v13
	v_div_fixup_f32 v7, v10, v6, v7
	v_fma_f32 v7, v7, v7, 1.0
	v_mul_f32_e32 v10, 0x4f800000, v7
	v_cmp_gt_f32_e32 vcc, s18, v7
	v_cndmask_b32_e32 v7, v7, v10, vcc
	v_sqrt_f32_e32 v10, v7
	v_add_u32_e32 v11, -1, v10
	v_fma_f32 v12, -v11, v10, v7
	v_cmp_ge_f32_e64 s[8:9], 0, v12
	v_add_u32_e32 v12, 1, v10
	v_cndmask_b32_e64 v11, v10, v11, s[8:9]
	v_fma_f32 v10, -v12, v10, v7
	v_cmp_lt_f32_e64 s[8:9], 0, v10
	v_cndmask_b32_e64 v10, v11, v12, s[8:9]
	v_mul_f32_e32 v11, 0x37800000, v10
	v_cndmask_b32_e32 v10, v10, v11, vcc
	v_cmp_class_f32_e32 vcc, v7, v17
	v_cndmask_b32_e32 v7, v10, v7, vcc
	v_mul_f32_e32 v10, v6, v7
.LBB17_125:                             ;   in Loop: Header=BB17_117 Depth=1
	v_cvt_f64_f32_e32 v[6:7], v10
	v_mov_b32_e32 v10, s68
	v_cmp_ge_f64_e32 vcc, v[2:3], v[6:7]
	v_mov_b32_e32 v6, s35
	v_cndmask_b32_e32 v7, v9, v10, vcc
	v_cndmask_b32_e32 v6, v8, v6, vcc
	s_and_saveexec_b64 s[8:9], s[4:5]
	s_cbranch_execz .LBB17_127
; %bb.126:                              ;   in Loop: Header=BB17_117 Depth=1
	v_mov_b32_e32 v10, s12
	ds_write_b64 v10, v[6:7]
.LBB17_127:                             ;   in Loop: Header=BB17_117 Depth=1
	s_or_b64 exec, exec, s[8:9]
	s_mov_b64 s[8:9], -1
	s_branch .LBB17_129
.LBB17_128:                             ;   in Loop: Header=BB17_117 Depth=1
	s_waitcnt lgkmcnt(0)
	v_cmp_neq_f32_e32 vcc, 0, v8
	v_cmp_neq_f32_e64 s[8:9], 0, v9
	s_or_b64 s[8:9], vcc, s[8:9]
	s_mov_b64 s[10:11], -1
	v_pk_mov_b32 v[6:7], v[8:9], v[8:9] op_sel:[0,1]
.LBB17_129:                             ;   in Loop: Header=BB17_117 Depth=1
	s_andn2_b64 vcc, exec, s[8:9]
                                        ; implicit-def: $sgpr21
	s_cbranch_vccz .LBB17_132
; %bb.130:                              ;   in Loop: Header=BB17_117 Depth=1
	s_andn2_b64 vcc, exec, s[10:11]
	s_cbranch_vccz .LBB17_141
.LBB17_131:                             ;   in Loop: Header=BB17_117 Depth=1
	s_cmp_eq_u32 s21, s31
	s_cbranch_scc0 .LBB17_142
	s_branch .LBB17_143
.LBB17_132:                             ;   in Loop: Header=BB17_117 Depth=1
	s_add_i32 s21, s19, 1
	v_add_u32_e32 v18, s21, v4
	v_cmp_gt_i32_e32 vcc, s31, v18
	s_and_saveexec_b64 s[10:11], vcc
	s_cbranch_execz .LBB17_140
; %bb.133:                              ;   in Loop: Header=BB17_117 Depth=1
	s_waitcnt lgkmcnt(0)
	v_mul_f32_e32 v8, v7, v7
	v_fmac_f32_e32 v8, v6, v6
	v_div_scale_f32 v9, s[8:9], v8, v8, 1.0
	v_rcp_f32_e32 v10, v9
	v_div_scale_f32 v11, vcc, 1.0, v8, 1.0
	v_add_u32_e32 v19, s21, v1
	v_fma_f32 v12, -v9, v10, 1.0
	v_fmac_f32_e32 v10, v12, v10
	v_mul_f32_e32 v12, v11, v10
	v_fma_f32 v13, -v9, v12, v11
	v_fmac_f32_e32 v12, v13, v10
	v_fma_f32 v9, -v9, v12, v11
	v_div_fmas_f32 v9, v9, v10, v12
	v_div_fixup_f32 v8, v9, v8, 1.0
	s_mul_i32 s8, s19, 0x90
	v_cmp_gt_i32_e32 vcc, s31, v19
	v_mov_b32_e32 v9, v8
	v_mov_b32_e32 v10, v6
	;; [unrolled: 1-line block ×4, first 2 shown]
	v_add_u32_e32 v20, s8, v16
	s_mov_b64 s[12:13], 0
	v_mov_b32_e32 v21, v5
	s_branch .LBB17_135
.LBB17_134:                             ;   in Loop: Header=BB17_135 Depth=2
	s_or_b64 exec, exec, s[14:15]
	v_add_u32_e32 v18, 16, v18
	v_cmp_le_i32_e64 s[8:9], s31, v18
	s_or_b64 s[12:13], s[8:9], s[12:13]
	v_add_u32_e32 v21, 0x80, v21
	s_andn2_b64 exec, exec, s[12:13]
	s_cbranch_execz .LBB17_140
.LBB17_135:                             ;   Parent Loop BB17_117 Depth=1
                                        ; =>  This Loop Header: Depth=2
                                        ;       Child Loop BB17_139 Depth 3
	v_lshl_add_u32 v14, v18, 3, s20
	ds_read_b64 v[12:13], v14
	s_waitcnt lgkmcnt(0)
	v_pk_mul_f32 v[22:23], v[6:7], v[12:13] op_sel:[0,1] op_sel_hi:[1,0] neg_hi:[0,1]
	v_pk_fma_f32 v[12:13], v[12:13], v[10:11], v[22:23]
	v_pk_mul_f32 v[12:13], v[8:9], v[12:13]
	s_and_saveexec_b64 s[8:9], s[6:7]
	s_cbranch_execz .LBB17_137
; %bb.136:                              ;   in Loop: Header=BB17_135 Depth=2
	ds_write_b64 v14, v[12:13]
.LBB17_137:                             ;   in Loop: Header=BB17_135 Depth=2
	s_or_b64 exec, exec, s[8:9]
	s_and_saveexec_b64 s[14:15], vcc
	s_cbranch_execz .LBB17_134
; %bb.138:                              ;   in Loop: Header=BB17_135 Depth=2
	v_xor_b32_e32 v15, 0x80000000, v12
	v_mov_b32_e32 v14, v13
	s_mov_b64 s[16:17], 0
	v_mov_b32_e32 v22, v20
	v_mov_b32_e32 v23, v19
.LBB17_139:                             ;   Parent Loop BB17_117 Depth=1
                                        ;     Parent Loop BB17_135 Depth=2
                                        ; =>    This Inner Loop Header: Depth=3
	v_add_u32_e32 v28, v22, v21
	ds_read_b64 v[24:25], v22
	ds_read_b64 v[26:27], v28 offset:8
	v_add_u32_e32 v23, 4, v23
	v_cmp_le_i32_e64 s[8:9], s31, v23
	v_add_u32_e32 v22, 0x220, v22
	s_or_b64 s[16:17], s[8:9], s[16:17]
	s_waitcnt lgkmcnt(0)
	v_pk_fma_f32 v[26:27], v[12:13], v[24:25], v[26:27] op_sel_hi:[1,0,1] neg_lo:[1,0,0] neg_hi:[1,0,0]
	v_pk_fma_f32 v[24:25], v[14:15], v[24:25], v[26:27] op_sel:[0,1,0]
	ds_write_b64 v28, v[24:25] offset:8
	s_andn2_b64 exec, exec, s[16:17]
	s_cbranch_execnz .LBB17_139
	s_branch .LBB17_134
.LBB17_140:                             ;   in Loop: Header=BB17_117 Depth=1
	s_or_b64 exec, exec, s[10:11]
	s_cbranch_execnz .LBB17_131
.LBB17_141:                             ;   in Loop: Header=BB17_117 Depth=1
	s_add_i32 s21, s19, 1
	s_mov_b64 s[42:43], -1
	s_cmp_eq_u32 s21, s31
	s_cbranch_scc1 .LBB17_143
.LBB17_142:                             ;   in Loop: Header=BB17_117 Depth=1
	s_mov_b32 s19, s21
	s_branch .LBB17_117
.LBB17_143:
	s_waitcnt lgkmcnt(0)
	s_and_saveexec_b64 s[4:5], s[2:3]
	s_cbranch_execz .LBB17_153
; %bb.144:
	s_mul_i32 s14, s44, s31
	v_bfe_u32 v1, v0, 10, 10
	s_cmp_lg_u32 s46, 0
	v_add_u32_e32 v2, s14, v4
	s_movk_i32 s6, 0x88
	v_cmp_gt_u32_e64 s[0:1], s31, v1
	s_cselect_b64 s[2:3], -1, 0
	v_mul_lo_u32 v6, s31, v2
	s_lshl_b32 s15, s31, 4
	v_mad_u32_u24 v5, v1, s6, v5
	s_mov_b64 s[6:7], 0
	s_branch .LBB17_146
.LBB17_145:                             ;   in Loop: Header=BB17_146 Depth=1
	s_or_b64 exec, exec, s[8:9]
	v_add_u32_e32 v4, 16, v4
	v_cmp_le_i32_e32 vcc, s31, v4
	v_add_u32_e32 v6, s15, v6
	s_or_b64 s[6:7], vcc, s[6:7]
	v_add_u32_e32 v5, 0x80, v5
	s_andn2_b64 exec, exec, s[6:7]
	s_cbranch_execz .LBB17_153
.LBB17_146:                             ; =>This Loop Header: Depth=1
                                        ;     Child Loop BB17_149 Depth 2
	s_and_saveexec_b64 s[8:9], s[0:1]
	s_cbranch_execz .LBB17_145
; %bb.147:                              ;   in Loop: Header=BB17_146 Depth=1
	s_mov_b64 s[10:11], 0
	v_mov_b32_e32 v7, v5
	v_mov_b32_e32 v8, v1
	s_branch .LBB17_149
.LBB17_148:                             ;   in Loop: Header=BB17_149 Depth=2
	v_ashrrev_i32_e32 v3, 31, v2
	v_lshlrev_b64 v[2:3], 3, v[2:3]
	ds_read_b64 v[10:11], v7
	v_mov_b32_e32 v9, s25
	v_add_co_u32_e32 v2, vcc, s24, v2
	v_addc_co_u32_e32 v3, vcc, v9, v3, vcc
	v_add_u32_e32 v8, 4, v8
	v_cmp_le_i32_e32 vcc, s31, v8
	s_or_b64 s[10:11], vcc, s[10:11]
	v_add_u32_e32 v7, 0x220, v7
	s_waitcnt lgkmcnt(0)
	global_store_dwordx2 v[2:3], v[10:11], off
	s_andn2_b64 exec, exec, s[10:11]
	s_cbranch_execz .LBB17_145
.LBB17_149:                             ;   Parent Loop BB17_146 Depth=1
                                        ; =>  This Inner Loop Header: Depth=2
	s_and_b64 vcc, exec, s[2:3]
	s_cbranch_vccz .LBB17_151
; %bb.150:                              ;   in Loop: Header=BB17_149 Depth=2
	v_add_u32_e32 v2, s14, v8
	v_mad_u64_u32 v[2:3], s[12:13], v2, s31, v[4:5]
	s_cbranch_execnz .LBB17_148
	s_branch .LBB17_152
.LBB17_151:                             ;   in Loop: Header=BB17_149 Depth=2
                                        ; implicit-def: $vgpr2
.LBB17_152:                             ;   in Loop: Header=BB17_149 Depth=2
	v_add_u32_e32 v2, v6, v8
	s_branch .LBB17_148
.LBB17_153:
	s_or_b64 exec, exec, s[4:5]
.LBB17_154:
	s_add_i32 s18, s44, 1
	s_cmp_ge_i32 s18, s33
	s_cbranch_scc1 .LBB17_187
; %bb.155:
	v_and_b32_e32 v1, 0x3ff, v0
	s_mul_i32 s4, s31, s18
	v_bfe_u32 v3, v0, 10, 10
	s_cmp_lg_u32 s46, 0
	v_add_u32_e32 v2, s4, v1
	s_cselect_b64 s[8:9], -1, 0
	s_cmp_gt_i32 s31, 0
	v_mul_lo_u32 v7, s31, v2
	v_mul_u32_u24_e32 v2, 0x88, v3
	v_lshlrev_b32_e32 v4, 3, v1
	s_movk_i32 s6, 0x880
	s_cselect_b64 s[4:5], -1, 0
	v_add3_u32 v8, v2, v4, s6
	v_mul_u32_u24_e32 v2, 0x88, v1
	v_lshlrev_b32_e32 v4, 3, v3
	s_movk_i32 s6, 0x888
	v_add3_u32 v9, v4, v2, s6
	v_cndmask_b32_e64 v2, 0, 1, s[4:5]
	v_cmp_gt_i32_e64 s[0:1], s31, v1
	v_cmp_gt_i32_e64 s[2:3], s31, v3
	v_add_u32_e32 v6, 1, v3
	s_mul_i32 s19, s31, s31
	s_lshl_b32 s20, s31, 4
	s_movk_i32 s21, 0x88
	v_add_u32_e32 v10, 8, v4
	v_cmp_ne_u32_e64 s[4:5], 1, v2
.LBB17_156:                             ; =>This Loop Header: Depth=1
                                        ;     Child Loop BB17_159 Depth 2
                                        ;       Child Loop BB17_162 Depth 3
                                        ;     Child Loop BB17_169 Depth 2
                                        ;       Child Loop BB17_172 Depth 3
                                        ;         Child Loop BB17_174 Depth 4
                                        ;     Child Loop BB17_178 Depth 2
                                        ;       Child Loop BB17_181 Depth 3
	s_mul_i32 s22, s18, s31
	s_waitcnt lgkmcnt(0)
	s_and_saveexec_b64 s[6:7], s[0:1]
	s_cbranch_execz .LBB17_166
; %bb.157:                              ;   in Loop: Header=BB17_156 Depth=1
	s_mov_b64 s[10:11], 0
	v_mov_b32_e32 v11, v8
	v_mov_b32_e32 v12, v7
	;; [unrolled: 1-line block ×3, first 2 shown]
	s_branch .LBB17_159
.LBB17_158:                             ;   in Loop: Header=BB17_159 Depth=2
	s_or_b64 exec, exec, s[12:13]
	v_add_u32_e32 v2, 16, v2
	v_cmp_le_i32_e32 vcc, s31, v2
	v_add_u32_e32 v12, s20, v12
	s_or_b64 s[10:11], vcc, s[10:11]
	v_add_u32_e32 v11, 0x80, v11
	s_andn2_b64 exec, exec, s[10:11]
	s_cbranch_execz .LBB17_166
.LBB17_159:                             ;   Parent Loop BB17_156 Depth=1
                                        ; =>  This Loop Header: Depth=2
                                        ;       Child Loop BB17_162 Depth 3
	s_and_saveexec_b64 s[12:13], s[2:3]
	s_cbranch_execz .LBB17_158
; %bb.160:                              ;   in Loop: Header=BB17_159 Depth=2
	s_mov_b64 s[14:15], 0
	v_mov_b32_e32 v13, v11
	v_mov_b32_e32 v14, v3
	s_branch .LBB17_162
.LBB17_161:                             ;   in Loop: Header=BB17_162 Depth=3
	v_ashrrev_i32_e32 v5, 31, v4
	v_lshlrev_b64 v[4:5], 3, v[4:5]
	v_mov_b32_e32 v15, s25
	v_add_co_u32_e32 v4, vcc, s24, v4
	v_addc_co_u32_e32 v5, vcc, v15, v5, vcc
	global_load_dwordx2 v[4:5], v[4:5], off
	v_add_u32_e32 v14, 4, v14
	v_cmp_le_i32_e32 vcc, s31, v14
	s_or_b64 s[14:15], vcc, s[14:15]
	s_waitcnt vmcnt(0)
	ds_write_b64 v13, v[4:5]
	v_add_u32_e32 v13, 0x220, v13
	s_andn2_b64 exec, exec, s[14:15]
	s_cbranch_execz .LBB17_158
.LBB17_162:                             ;   Parent Loop BB17_156 Depth=1
                                        ;     Parent Loop BB17_159 Depth=2
                                        ; =>    This Inner Loop Header: Depth=3
	s_and_b64 vcc, exec, s[8:9]
	s_cbranch_vccz .LBB17_164
; %bb.163:                              ;   in Loop: Header=BB17_162 Depth=3
	v_add_u32_e32 v4, s22, v14
	v_mad_u64_u32 v[4:5], s[16:17], v4, s31, v[2:3]
	s_cbranch_execnz .LBB17_161
	s_branch .LBB17_165
.LBB17_164:                             ;   in Loop: Header=BB17_162 Depth=3
                                        ; implicit-def: $vgpr4
.LBB17_165:                             ;   in Loop: Header=BB17_162 Depth=3
	v_add_u32_e32 v4, v12, v14
	s_branch .LBB17_161
.LBB17_166:                             ;   in Loop: Header=BB17_156 Depth=1
	s_or_b64 exec, exec, s[6:7]
	s_and_b64 vcc, exec, s[4:5]
	s_waitcnt lgkmcnt(0)
	s_cbranch_vccnz .LBB17_175
; %bb.167:                              ;   in Loop: Header=BB17_156 Depth=1
	s_mov_b32 s23, 0
	v_mov_b32_e32 v2, v10
	v_mov_b32_e32 v4, v9
	s_branch .LBB17_169
.LBB17_168:                             ;   in Loop: Header=BB17_169 Depth=2
	s_or_b64 exec, exec, s[10:11]
	s_add_i32 s23, s23, 1
	v_add_u32_e32 v4, 8, v4
	s_cmp_eq_u32 s23, s31
	v_add_u32_e32 v2, 0x90, v2
	s_cbranch_scc1 .LBB17_175
.LBB17_169:                             ;   Parent Loop BB17_156 Depth=1
                                        ; =>  This Loop Header: Depth=2
                                        ;       Child Loop BB17_172 Depth 3
                                        ;         Child Loop BB17_174 Depth 4
	s_and_saveexec_b64 s[10:11], s[0:1]
	s_cbranch_execz .LBB17_168
; %bb.170:                              ;   in Loop: Header=BB17_169 Depth=2
	v_add_u32_e32 v5, s23, v6
	s_lshl_b32 s26, s23, 3
	v_cmp_gt_i32_e32 vcc, s31, v5
	s_mov_b64 s[12:13], 0
	s_addk_i32 s26, 0x880
	v_mov_b32_e32 v11, v4
	v_mov_b32_e32 v12, v1
	s_branch .LBB17_172
.LBB17_171:                             ;   in Loop: Header=BB17_172 Depth=3
	s_or_b64 exec, exec, s[14:15]
	v_add_u32_e32 v12, 16, v12
	v_cmp_le_i32_e64 s[6:7], s31, v12
	s_or_b64 s[12:13], s[6:7], s[12:13]
	v_add_u32_e32 v11, 0x880, v11
	s_andn2_b64 exec, exec, s[12:13]
	s_cbranch_execz .LBB17_168
.LBB17_172:                             ;   Parent Loop BB17_156 Depth=1
                                        ;     Parent Loop BB17_169 Depth=2
                                        ; =>    This Loop Header: Depth=3
                                        ;         Child Loop BB17_174 Depth 4
	s_and_saveexec_b64 s[14:15], vcc
	s_cbranch_execz .LBB17_171
; %bb.173:                              ;   in Loop: Header=BB17_172 Depth=3
	v_mul_lo_u32 v13, v12, s21
	v_add_u32_e32 v13, s26, v13
	s_mov_b64 s[16:17], 0
	v_mov_b32_e32 v14, v2
	v_mov_b32_e32 v15, v11
	;; [unrolled: 1-line block ×3, first 2 shown]
.LBB17_174:                             ;   Parent Loop BB17_156 Depth=1
                                        ;     Parent Loop BB17_169 Depth=2
                                        ;       Parent Loop BB17_172 Depth=3
                                        ; =>      This Inner Loop Header: Depth=4
	ds_read_b64 v[18:19], v13
	ds_read_b64 v[20:21], v14
	;; [unrolled: 1-line block ×3, first 2 shown]
	v_add_u32_e32 v16, 4, v16
	v_cmp_le_i32_e64 s[6:7], s31, v16
	s_or_b64 s[16:17], s[6:7], s[16:17]
	v_add_u32_e32 v14, 32, v14
	s_waitcnt lgkmcnt(0)
	v_pk_fma_f32 v[22:23], v[20:21], v[18:19], v[22:23] op_sel_hi:[1,0,1] neg_lo:[1,0,0] neg_hi:[1,0,0]
	v_pk_fma_f32 v[18:19], v[20:21], v[18:19], v[22:23] op_sel:[1,1,0] op_sel_hi:[0,1,1] neg_hi:[1,0,0]
	ds_write_b64 v15, v[18:19]
	v_add_u32_e32 v15, 32, v15
	s_andn2_b64 exec, exec, s[16:17]
	s_cbranch_execnz .LBB17_174
	s_branch .LBB17_171
.LBB17_175:                             ;   in Loop: Header=BB17_156 Depth=1
	s_waitcnt lgkmcnt(0)
	s_and_saveexec_b64 s[6:7], s[0:1]
	s_cbranch_execz .LBB17_185
; %bb.176:                              ;   in Loop: Header=BB17_156 Depth=1
	s_mov_b64 s[10:11], 0
	v_mov_b32_e32 v11, v8
	v_mov_b32_e32 v12, v7
	v_mov_b32_e32 v2, v1
	s_branch .LBB17_178
.LBB17_177:                             ;   in Loop: Header=BB17_178 Depth=2
	s_or_b64 exec, exec, s[12:13]
	v_add_u32_e32 v2, 16, v2
	v_cmp_le_i32_e32 vcc, s31, v2
	v_add_u32_e32 v12, s20, v12
	s_or_b64 s[10:11], vcc, s[10:11]
	v_add_u32_e32 v11, 0x80, v11
	s_andn2_b64 exec, exec, s[10:11]
	s_cbranch_execz .LBB17_185
.LBB17_178:                             ;   Parent Loop BB17_156 Depth=1
                                        ; =>  This Loop Header: Depth=2
                                        ;       Child Loop BB17_181 Depth 3
	s_and_saveexec_b64 s[12:13], s[2:3]
	s_cbranch_execz .LBB17_177
; %bb.179:                              ;   in Loop: Header=BB17_178 Depth=2
	s_mov_b64 s[14:15], 0
	v_mov_b32_e32 v13, v11
	v_mov_b32_e32 v14, v3
	s_branch .LBB17_181
.LBB17_180:                             ;   in Loop: Header=BB17_181 Depth=3
	v_ashrrev_i32_e32 v5, 31, v4
	v_lshlrev_b64 v[4:5], 3, v[4:5]
	ds_read_b64 v[16:17], v13
	v_mov_b32_e32 v15, s25
	v_add_co_u32_e32 v4, vcc, s24, v4
	v_addc_co_u32_e32 v5, vcc, v15, v5, vcc
	v_add_u32_e32 v14, 4, v14
	v_cmp_le_i32_e32 vcc, s31, v14
	s_or_b64 s[14:15], vcc, s[14:15]
	v_add_u32_e32 v13, 0x220, v13
	s_waitcnt lgkmcnt(0)
	global_store_dwordx2 v[4:5], v[16:17], off
	s_andn2_b64 exec, exec, s[14:15]
	s_cbranch_execz .LBB17_177
.LBB17_181:                             ;   Parent Loop BB17_156 Depth=1
                                        ;     Parent Loop BB17_178 Depth=2
                                        ; =>    This Inner Loop Header: Depth=3
	s_and_b64 vcc, exec, s[8:9]
	s_cbranch_vccz .LBB17_183
; %bb.182:                              ;   in Loop: Header=BB17_181 Depth=3
	v_add_u32_e32 v4, s22, v14
	v_mad_u64_u32 v[4:5], s[16:17], v4, s31, v[2:3]
	s_cbranch_execnz .LBB17_180
	s_branch .LBB17_184
.LBB17_183:                             ;   in Loop: Header=BB17_181 Depth=3
                                        ; implicit-def: $vgpr4
.LBB17_184:                             ;   in Loop: Header=BB17_181 Depth=3
	v_add_u32_e32 v4, v12, v14
	s_branch .LBB17_180
.LBB17_185:                             ;   in Loop: Header=BB17_156 Depth=1
	s_or_b64 exec, exec, s[6:7]
; %bb.186:                              ;   in Loop: Header=BB17_156 Depth=1
	s_add_i32 s18, s18, 1
	s_cmp_ge_i32 s18, s33
	v_add_u32_e32 v7, s19, v7
	s_cbranch_scc0 .LBB17_156
.LBB17_187:
	v_and_b32_e32 v1, 0x3ff, v0
	v_bfe_u32 v0, v0, 10, 10
	v_or_b32_e32 v0, v1, v0
	v_cmp_eq_u32_e32 vcc, 0, v0
	s_and_saveexec_b64 s[0:1], vcc
	s_cbranch_execz .LBB17_191
; %bb.188:
	s_add_u32 s0, s28, s40
	s_addc_u32 s1, s29, s41
	v_mov_b32_e32 v0, 0
	v_mov_b32_e32 v1, 1
	s_andn2_b64 vcc, exec, s[42:43]
	s_waitcnt vmcnt(0)
	global_store_dword v0, v1, s[0:1]
	s_cbranch_vccnz .LBB17_191
; %bb.189:
	v_mbcnt_lo_u32_b32 v0, exec_lo, 0
	v_mbcnt_hi_u32_b32 v0, exec_hi, v0
	v_cmp_eq_u32_e32 vcc, 0, v0
	s_and_b64 exec, exec, vcc
	s_cbranch_execz .LBB17_191
; %bb.190:
	s_add_i32 s0, s30, s34
	v_mov_b32_e32 v0, 0
	v_mov_b32_e32 v1, s0
	global_atomic_smin v0, v1, s[38:39]
.LBB17_191:
	s_endpgm
	.section	.rodata,"a",@progbits
	.p2align	6, 0x0
	.amdhsa_kernel _ZN9rocsparseL12bsrilu0_9_32ILj64ELj64ELj16E21rocsparse_complex_numIfEEEv20rocsparse_direction_iPKiS5_PT2_S5_iPiS5_S8_21rocsparse_index_base_imNS_24const_host_device_scalarIfEENSA_IdEENSA_IS6_EEb
		.amdhsa_group_segment_fixed_size 4352
		.amdhsa_private_segment_fixed_size 0
		.amdhsa_kernarg_size 116
		.amdhsa_user_sgpr_count 6
		.amdhsa_user_sgpr_private_segment_buffer 1
		.amdhsa_user_sgpr_dispatch_ptr 0
		.amdhsa_user_sgpr_queue_ptr 0
		.amdhsa_user_sgpr_kernarg_segment_ptr 1
		.amdhsa_user_sgpr_dispatch_id 0
		.amdhsa_user_sgpr_flat_scratch_init 0
		.amdhsa_user_sgpr_kernarg_preload_length 0
		.amdhsa_user_sgpr_kernarg_preload_offset 0
		.amdhsa_user_sgpr_private_segment_size 0
		.amdhsa_uses_dynamic_stack 0
		.amdhsa_system_sgpr_private_segment_wavefront_offset 0
		.amdhsa_system_sgpr_workgroup_id_x 1
		.amdhsa_system_sgpr_workgroup_id_y 0
		.amdhsa_system_sgpr_workgroup_id_z 0
		.amdhsa_system_sgpr_workgroup_info 0
		.amdhsa_system_vgpr_workitem_id 1
		.amdhsa_next_free_vgpr 60
		.amdhsa_next_free_sgpr 83
		.amdhsa_accum_offset 60
		.amdhsa_reserve_vcc 1
		.amdhsa_reserve_flat_scratch 0
		.amdhsa_float_round_mode_32 0
		.amdhsa_float_round_mode_16_64 0
		.amdhsa_float_denorm_mode_32 3
		.amdhsa_float_denorm_mode_16_64 3
		.amdhsa_dx10_clamp 1
		.amdhsa_ieee_mode 1
		.amdhsa_fp16_overflow 0
		.amdhsa_tg_split 0
		.amdhsa_exception_fp_ieee_invalid_op 0
		.amdhsa_exception_fp_denorm_src 0
		.amdhsa_exception_fp_ieee_div_zero 0
		.amdhsa_exception_fp_ieee_overflow 0
		.amdhsa_exception_fp_ieee_underflow 0
		.amdhsa_exception_fp_ieee_inexact 0
		.amdhsa_exception_int_div_zero 0
	.end_amdhsa_kernel
	.section	.text._ZN9rocsparseL12bsrilu0_9_32ILj64ELj64ELj16E21rocsparse_complex_numIfEEEv20rocsparse_direction_iPKiS5_PT2_S5_iPiS5_S8_21rocsparse_index_base_imNS_24const_host_device_scalarIfEENSA_IdEENSA_IS6_EEb,"axG",@progbits,_ZN9rocsparseL12bsrilu0_9_32ILj64ELj64ELj16E21rocsparse_complex_numIfEEEv20rocsparse_direction_iPKiS5_PT2_S5_iPiS5_S8_21rocsparse_index_base_imNS_24const_host_device_scalarIfEENSA_IdEENSA_IS6_EEb,comdat
.Lfunc_end17:
	.size	_ZN9rocsparseL12bsrilu0_9_32ILj64ELj64ELj16E21rocsparse_complex_numIfEEEv20rocsparse_direction_iPKiS5_PT2_S5_iPiS5_S8_21rocsparse_index_base_imNS_24const_host_device_scalarIfEENSA_IdEENSA_IS6_EEb, .Lfunc_end17-_ZN9rocsparseL12bsrilu0_9_32ILj64ELj64ELj16E21rocsparse_complex_numIfEEEv20rocsparse_direction_iPKiS5_PT2_S5_iPiS5_S8_21rocsparse_index_base_imNS_24const_host_device_scalarIfEENSA_IdEENSA_IS6_EEb
                                        ; -- End function
	.section	.AMDGPU.csdata,"",@progbits
; Kernel info:
; codeLenInByte = 5832
; NumSgprs: 87
; NumVgprs: 60
; NumAgprs: 0
; TotalNumVgprs: 60
; ScratchSize: 0
; MemoryBound: 0
; FloatMode: 240
; IeeeMode: 1
; LDSByteSize: 4352 bytes/workgroup (compile time only)
; SGPRBlocks: 10
; VGPRBlocks: 7
; NumSGPRsForWavesPerEU: 87
; NumVGPRsForWavesPerEU: 60
; AccumOffset: 60
; Occupancy: 4
; WaveLimiterHint : 1
; COMPUTE_PGM_RSRC2:SCRATCH_EN: 0
; COMPUTE_PGM_RSRC2:USER_SGPR: 6
; COMPUTE_PGM_RSRC2:TRAP_HANDLER: 0
; COMPUTE_PGM_RSRC2:TGID_X_EN: 1
; COMPUTE_PGM_RSRC2:TGID_Y_EN: 0
; COMPUTE_PGM_RSRC2:TGID_Z_EN: 0
; COMPUTE_PGM_RSRC2:TIDIG_COMP_CNT: 1
; COMPUTE_PGM_RSRC3_GFX90A:ACCUM_OFFSET: 14
; COMPUTE_PGM_RSRC3_GFX90A:TG_SPLIT: 0
	.section	.text._ZN9rocsparseL12bsrilu0_9_32ILj64ELj64ELj32E21rocsparse_complex_numIfEEEv20rocsparse_direction_iPKiS5_PT2_S5_iPiS5_S8_21rocsparse_index_base_imNS_24const_host_device_scalarIfEENSA_IdEENSA_IS6_EEb,"axG",@progbits,_ZN9rocsparseL12bsrilu0_9_32ILj64ELj64ELj32E21rocsparse_complex_numIfEEEv20rocsparse_direction_iPKiS5_PT2_S5_iPiS5_S8_21rocsparse_index_base_imNS_24const_host_device_scalarIfEENSA_IdEENSA_IS6_EEb,comdat
	.globl	_ZN9rocsparseL12bsrilu0_9_32ILj64ELj64ELj32E21rocsparse_complex_numIfEEEv20rocsparse_direction_iPKiS5_PT2_S5_iPiS5_S8_21rocsparse_index_base_imNS_24const_host_device_scalarIfEENSA_IdEENSA_IS6_EEb ; -- Begin function _ZN9rocsparseL12bsrilu0_9_32ILj64ELj64ELj32E21rocsparse_complex_numIfEEEv20rocsparse_direction_iPKiS5_PT2_S5_iPiS5_S8_21rocsparse_index_base_imNS_24const_host_device_scalarIfEENSA_IdEENSA_IS6_EEb
	.p2align	8
	.type	_ZN9rocsparseL12bsrilu0_9_32ILj64ELj64ELj32E21rocsparse_complex_numIfEEEv20rocsparse_direction_iPKiS5_PT2_S5_iPiS5_S8_21rocsparse_index_base_imNS_24const_host_device_scalarIfEENSA_IdEENSA_IS6_EEb,@function
_ZN9rocsparseL12bsrilu0_9_32ILj64ELj64ELj32E21rocsparse_complex_numIfEEEv20rocsparse_direction_iPKiS5_PT2_S5_iPiS5_S8_21rocsparse_index_base_imNS_24const_host_device_scalarIfEENSA_IdEENSA_IS6_EEb: ; @_ZN9rocsparseL12bsrilu0_9_32ILj64ELj64ELj32E21rocsparse_complex_numIfEEEv20rocsparse_direction_iPKiS5_PT2_S5_iPiS5_S8_21rocsparse_index_base_imNS_24const_host_device_scalarIfEENSA_IdEENSA_IS6_EEb
; %bb.0:
	s_load_dword s0, s[4:5], 0x70
	s_load_dwordx2 s[34:35], s[4:5], 0x48
	s_load_dwordx8 s[36:43], s[4:5], 0x50
	s_waitcnt lgkmcnt(0)
	s_bitcmp1_b32 s0, 0
	s_cselect_b64 s[2:3], -1, 0
	s_cmp_lg_u32 s35, 0
	s_cselect_b64 s[8:9], -1, 0
	s_cmp_eq_u32 s35, 0
	s_cselect_b64 s[12:13], -1, 0
	s_and_b64 s[0:1], s[12:13], exec
	s_cselect_b32 s10, 0, s40
	s_cselect_b32 s11, 0, s41
	s_or_b64 s[14:15], s[12:13], s[2:3]
	s_xor_b64 s[0:1], s[14:15], -1
	s_and_b64 vcc, exec, s[14:15]
	s_cbranch_vccnz .LBB18_2
; %bb.1:
	s_load_dword s7, s[38:39], 0x0
	s_mov_b64 s[10:11], s[40:41]
	s_waitcnt lgkmcnt(0)
	v_mov_b32_e32 v1, s7
	s_andn2_b64 vcc, exec, s[0:1]
	v_pk_mov_b32 v[2:3], s[10:11], s[10:11] op_sel:[0,1]
	s_cbranch_vccz .LBB18_3
	s_branch .LBB18_4
.LBB18_2:
	v_mov_b32_e32 v1, s38
	v_cndmask_b32_e64 v1, v1, 0, s[12:13]
	s_andn2_b64 vcc, exec, s[0:1]
	v_pk_mov_b32 v[2:3], s[10:11], s[10:11] op_sel:[0,1]
	s_cbranch_vccnz .LBB18_4
.LBB18_3:
	v_pk_mov_b32 v[2:3], s[40:41], s[40:41] op_sel:[0,1]
	flat_load_dwordx2 v[2:3], v[2:3]
.LBB18_4:
	v_cndmask_b32_e64 v4, 0, 1, s[8:9]
	s_mov_b32 s68, 0
	v_cmp_ne_u32_e64 s[0:1], 1, v4
	s_andn2_b64 vcc, exec, s[8:9]
	s_mov_b32 s35, 0
	s_cbranch_vccnz .LBB18_10
; %bb.5:
	s_xor_b64 s[8:9], s[2:3], -1
	v_cndmask_b32_e64 v4, 0, 1, s[8:9]
	v_cmp_ne_u32_e64 s[2:3], 1, v4
	s_andn2_b64 vcc, exec, s[8:9]
	s_mov_b32 s35, s42
	s_cbranch_vccnz .LBB18_7
; %bb.6:
	s_load_dword s35, s[42:43], 0x0
.LBB18_7:
	s_and_b64 vcc, exec, s[2:3]
	s_cbranch_vccnz .LBB18_9
; %bb.8:
	s_load_dword s43, s[42:43], 0x4
.LBB18_9:
	s_waitcnt lgkmcnt(0)
	s_mov_b32 s68, s43
.LBB18_10:
	s_load_dwordx4 s[28:31], s[4:5], 0x30
	s_load_dwordx2 s[38:39], s[4:5], 0x40
	s_mov_b32 s7, 0
	s_lshl_b64 s[2:3], s[6:7], 2
	s_waitcnt lgkmcnt(0)
	s_add_u32 s2, s30, s2
	s_addc_u32 s3, s31, s3
	s_load_dword s30, s[2:3], 0x0
	s_load_dwordx8 s[20:27], s[4:5], 0x8
	s_waitcnt lgkmcnt(0)
	s_ashr_i32 s31, s30, 31
	s_lshl_b64 s[40:41], s[30:31], 2
	s_add_u32 s2, s26, s40
	s_addc_u32 s3, s27, s41
	s_load_dword s44, s[2:3], 0x0
	s_waitcnt lgkmcnt(0)
	s_cmp_eq_u32 s44, -1
	s_cbranch_scc1 .LBB18_114
; %bb.11:
	s_add_u32 s2, s20, s40
	s_addc_u32 s3, s21, s41
	s_load_dwordx2 s[6:7], s[2:3], 0x0
	s_load_dwordx2 s[46:47], s[4:5], 0x0
	s_load_dword s31, s[4:5], 0x28
	s_mov_b64 s[42:43], 0
	s_waitcnt lgkmcnt(0)
	s_sub_i32 s48, s6, s34
	s_sub_i32 s33, s7, s34
	s_cmp_ge_i32 s48, s44
	s_cbranch_scc1 .LBB18_103
; %bb.12:
	v_bfe_u32 v23, v0, 10, 10
	s_cmp_lg_u32 s46, 0
	v_and_b32_e32 v22, 0x3ff, v0
	s_cselect_b64 s[50:51], -1, 0
	s_cmp_gt_i32 s31, 0
	v_lshlrev_b32_e32 v4, 5, v23
	s_cselect_b64 s[52:53], -1, 0
	v_add3_u32 v4, v4, v22, s48
	s_add_i32 s45, s47, 1
	v_ashrrev_i32_e32 v5, 31, v4
	s_add_u32 s69, s20, 4
	v_lshlrev_b64 v[6:7], 2, v[4:5]
	v_lshlrev_b32_e32 v8, 3, v22
	s_movk_i32 s47, 0x108
	s_addc_u32 s70, s21, 0
	s_mul_i32 s12, s31, s48
	v_mov_b32_e32 v5, s23
	v_add_co_u32_e32 v6, vcc, s22, v6
	v_mad_u32_u24 v24, v23, s47, v8
	s_add_u32 s71, s22, 0x100
	v_add_u32_e32 v9, s12, v22
	v_add_u32_e32 v31, 0x2100, v8
	v_mbcnt_lo_u32_b32 v8, -1, 0
	v_cmp_gt_i32_e64 s[2:3], s31, v22
	v_cmp_le_i32_e64 s[4:5], s31, v22
	v_cmp_gt_i32_e64 s[6:7], s31, v23
	v_cmp_eq_u32_e64 s[8:9], 0, v23
	v_cmp_gt_i32_e64 s[10:11], s33, v4
	v_addc_co_u32_e32 v7, vcc, v5, v7, vcc
	v_add_u32_e32 v5, 3, v23
	v_add_u32_e32 v25, 0x2100, v24
	s_addc_u32 s72, s23, 0
	v_mul_lo_u32 v26, s31, v9
	s_mul_i32 s73, s31, s31
	s_lshl_b32 s74, s31, 5
	v_mul_u32_u24_e32 v27, 0x108, v23
	v_add_u32_e32 v28, 0x2208, v24
	v_mad_u32_u24 v29, v23, s47, s47
	v_sub_u32_e32 v30, -2, v23
	v_mov_b32_e32 v32, 0
	s_movk_i32 s75, 0x210
	v_mbcnt_hi_u32_b32 v33, -1, v8
	s_branch .LBB18_15
.LBB18_13:                              ;   in Loop: Header=BB18_15 Depth=1
	s_mov_b64 s[42:43], -1
.LBB18_14:                              ;   in Loop: Header=BB18_15 Depth=1
	s_add_i32 s48, s48, 1
	s_cmp_lt_i32 s48, s44
	s_cselect_b64 s[12:13], -1, 0
	s_and_b64 s[12:13], s[20:21], s[12:13]
	v_add_u32_e32 v26, s73, v26
	s_and_b64 vcc, exec, s[12:13]
	s_cbranch_vccz .LBB18_103
.LBB18_15:                              ; =>This Loop Header: Depth=1
                                        ;     Child Loop BB18_18 Depth 2
                                        ;       Child Loop BB18_21 Depth 3
                                        ;     Child Loop BB18_27 Depth 2
                                        ;     Child Loop BB18_31 Depth 2
                                        ;       Child Loop BB18_34 Depth 3
                                        ;     Child Loop BB18_41 Depth 2
                                        ;       Child Loop BB18_44 Depth 3
                                        ;         Child Loop BB18_50 Depth 4
                                        ;         Child Loop BB18_55 Depth 4
                                        ;     Child Loop BB18_59 Depth 2
                                        ;       Child Loop BB18_62 Depth 3
                                        ;     Child Loop BB18_71 Depth 2
                                        ;       Child Loop BB18_76 Depth 3
                                        ;       Child Loop BB18_85 Depth 3
                                        ;         Child Loop BB18_88 Depth 4
                                        ;       Child Loop BB18_94 Depth 3
                                        ;         Child Loop BB18_97 Depth 4
                                        ;           Child Loop BB18_98 Depth 5
	s_ashr_i32 s49, s48, 31
	s_lshl_b64 s[12:13], s[48:49], 2
	s_add_u32 s12, s22, s12
	s_addc_u32 s13, s23, s13
	global_load_dword v8, v32, s[12:13]
	s_waitcnt vmcnt(0)
	v_readfirstlane_b32 s49, v8
	s_and_saveexec_b64 s[12:13], s[2:3]
	s_cbranch_execz .LBB18_25
; %bb.16:                               ;   in Loop: Header=BB18_15 Depth=1
	s_mul_i32 s54, s48, s31
	s_mov_b64 s[14:15], 0
	v_mov_b32_e32 v9, v25
	v_mov_b32_e32 v12, v26
	;; [unrolled: 1-line block ×3, first 2 shown]
	s_branch .LBB18_18
.LBB18_17:                              ;   in Loop: Header=BB18_18 Depth=2
	s_or_b64 exec, exec, s[16:17]
	v_add_u32_e32 v8, 32, v8
	v_cmp_le_i32_e32 vcc, s31, v8
	v_add_u32_e32 v12, s74, v12
	s_or_b64 s[14:15], vcc, s[14:15]
	v_add_u32_e32 v9, 0x100, v9
	s_andn2_b64 exec, exec, s[14:15]
	s_cbranch_execz .LBB18_25
.LBB18_18:                              ;   Parent Loop BB18_15 Depth=1
                                        ; =>  This Loop Header: Depth=2
                                        ;       Child Loop BB18_21 Depth 3
	s_and_saveexec_b64 s[16:17], s[6:7]
	s_cbranch_execz .LBB18_17
; %bb.19:                               ;   in Loop: Header=BB18_18 Depth=2
	s_mov_b64 s[18:19], 0
	v_mov_b32_e32 v13, v9
	v_mov_b32_e32 v14, v23
	s_branch .LBB18_21
.LBB18_20:                              ;   in Loop: Header=BB18_21 Depth=3
	v_ashrrev_i32_e32 v11, 31, v10
	v_lshlrev_b64 v[10:11], 3, v[10:11]
	v_mov_b32_e32 v15, s25
	v_add_co_u32_e32 v10, vcc, s24, v10
	v_addc_co_u32_e32 v11, vcc, v15, v11, vcc
	global_load_dwordx2 v[10:11], v[10:11], off
	v_add_u32_e32 v14, 2, v14
	v_cmp_le_i32_e32 vcc, s31, v14
	s_or_b64 s[18:19], vcc, s[18:19]
	s_waitcnt vmcnt(0)
	ds_write_b64 v13, v[10:11]
	v_add_u32_e32 v13, 0x210, v13
	s_andn2_b64 exec, exec, s[18:19]
	s_cbranch_execz .LBB18_17
.LBB18_21:                              ;   Parent Loop BB18_15 Depth=1
                                        ;     Parent Loop BB18_18 Depth=2
                                        ; =>    This Inner Loop Header: Depth=3
	s_and_b64 vcc, exec, s[50:51]
	s_cbranch_vccz .LBB18_23
; %bb.22:                               ;   in Loop: Header=BB18_21 Depth=3
	v_add_u32_e32 v10, s54, v14
	v_mad_u64_u32 v[10:11], s[20:21], v10, s31, v[8:9]
	s_cbranch_execnz .LBB18_20
	s_branch .LBB18_24
.LBB18_23:                              ;   in Loop: Header=BB18_21 Depth=3
                                        ; implicit-def: $vgpr10
.LBB18_24:                              ;   in Loop: Header=BB18_21 Depth=3
	v_add_u32_e32 v10, v12, v14
	s_branch .LBB18_20
.LBB18_25:                              ;   in Loop: Header=BB18_15 Depth=1
	s_or_b64 exec, exec, s[12:13]
	s_sub_i32 s12, s49, s34
	s_ashr_i32 s13, s12, 31
	s_lshl_b64 s[12:13], s[12:13], 2
	s_add_u32 s14, s26, s12
	s_addc_u32 s15, s27, s13
	global_load_dword v8, v32, s[14:15]
	s_waitcnt vmcnt(0)
	v_readfirstlane_b32 s49, v8
	v_cmp_eq_u32_e32 vcc, -1, v8
	s_cmp_lg_u32 s49, -1
	s_cselect_b64 s[20:21], -1, 0
	s_cbranch_vccnz .LBB18_13
; %bb.26:                               ;   in Loop: Header=BB18_15 Depth=1
	s_add_u32 s14, s69, s12
	s_addc_u32 s15, s70, s13
	global_load_dword v8, v32, s[14:15]
	s_add_u32 s12, s28, s12
	s_addc_u32 s13, s29, s13
	s_waitcnt vmcnt(0)
	v_readfirstlane_b32 s76, v8
.LBB18_27:                              ;   Parent Loop BB18_15 Depth=1
                                        ; =>  This Inner Loop Header: Depth=2
	global_load_dword v8, v32, s[12:13] glc
	s_waitcnt vmcnt(0)
	v_cmp_eq_u32_e32 vcc, 0, v8
	s_cbranch_vccnz .LBB18_27
; %bb.28:                               ;   in Loop: Header=BB18_15 Depth=1
	s_waitcnt lgkmcnt(0)
	buffer_wbinvl1_vol
	s_and_saveexec_b64 s[12:13], s[2:3]
	s_cbranch_execz .LBB18_38
; %bb.29:                               ;   in Loop: Header=BB18_15 Depth=1
	s_mul_i32 s56, s49, s31
	v_add_u32_e32 v8, s56, v22
	v_mul_lo_u32 v9, s31, v8
	s_mov_b64 s[14:15], 0
	v_mov_b32_e32 v12, v24
	v_mov_b32_e32 v8, v22
	s_branch .LBB18_31
.LBB18_30:                              ;   in Loop: Header=BB18_31 Depth=2
	s_or_b64 exec, exec, s[16:17]
	v_add_u32_e32 v8, 32, v8
	v_cmp_le_i32_e32 vcc, s31, v8
	v_add_u32_e32 v9, s74, v9
	s_or_b64 s[14:15], vcc, s[14:15]
	v_add_u32_e32 v12, 0x100, v12
	s_andn2_b64 exec, exec, s[14:15]
	s_cbranch_execz .LBB18_38
.LBB18_31:                              ;   Parent Loop BB18_15 Depth=1
                                        ; =>  This Loop Header: Depth=2
                                        ;       Child Loop BB18_34 Depth 3
	s_and_saveexec_b64 s[16:17], s[6:7]
	s_cbranch_execz .LBB18_30
; %bb.32:                               ;   in Loop: Header=BB18_31 Depth=2
	s_mov_b64 s[18:19], 0
	v_mov_b32_e32 v13, v12
	v_mov_b32_e32 v14, v23
	s_branch .LBB18_34
.LBB18_33:                              ;   in Loop: Header=BB18_34 Depth=3
	v_ashrrev_i32_e32 v11, 31, v10
	v_lshlrev_b64 v[10:11], 3, v[10:11]
	v_mov_b32_e32 v15, s25
	v_add_co_u32_e32 v10, vcc, s24, v10
	v_addc_co_u32_e32 v11, vcc, v15, v11, vcc
	global_load_dwordx2 v[10:11], v[10:11], off
	v_add_u32_e32 v14, 2, v14
	v_cmp_le_i32_e32 vcc, s31, v14
	s_or_b64 s[18:19], vcc, s[18:19]
	s_waitcnt vmcnt(0)
	ds_write_b64 v13, v[10:11]
	v_add_u32_e32 v13, 0x210, v13
	s_andn2_b64 exec, exec, s[18:19]
	s_cbranch_execz .LBB18_30
.LBB18_34:                              ;   Parent Loop BB18_15 Depth=1
                                        ;     Parent Loop BB18_31 Depth=2
                                        ; =>    This Inner Loop Header: Depth=3
	s_and_b64 vcc, exec, s[50:51]
	s_cbranch_vccz .LBB18_36
; %bb.35:                               ;   in Loop: Header=BB18_34 Depth=3
	v_add_u32_e32 v10, s56, v14
	v_mad_u64_u32 v[10:11], s[54:55], v10, s31, v[8:9]
	s_cbranch_execnz .LBB18_33
	s_branch .LBB18_37
.LBB18_36:                              ;   in Loop: Header=BB18_34 Depth=3
                                        ; implicit-def: $vgpr10
.LBB18_37:                              ;   in Loop: Header=BB18_34 Depth=3
	v_add_u32_e32 v10, v9, v14
	s_branch .LBB18_33
.LBB18_38:                              ;   in Loop: Header=BB18_15 Depth=1
	s_or_b64 exec, exec, s[12:13]
	s_andn2_b64 vcc, exec, s[52:53]
	s_waitcnt lgkmcnt(0)
	s_cbranch_vccnz .LBB18_56
; %bb.39:                               ;   in Loop: Header=BB18_15 Depth=1
	s_mov_b32 s77, 0
	s_mov_b32 s78, 0
	v_mov_b32_e32 v34, v30
	v_mov_b32_e32 v35, v5
	;; [unrolled: 1-line block ×4, first 2 shown]
	s_branch .LBB18_41
.LBB18_40:                              ;   in Loop: Header=BB18_41 Depth=2
	s_or_b64 exec, exec, s[54:55]
	s_add_i32 s78, s78, 1
	s_add_i32 s77, s77, 8
	v_add_u32_e32 v37, 0x108, v37
	v_add_u32_e32 v36, 0x110, v36
	;; [unrolled: 1-line block ×3, first 2 shown]
	s_cmp_eq_u32 s78, s31
	v_add_u32_e32 v34, -1, v34
	s_waitcnt lgkmcnt(0)
	s_cbranch_scc1 .LBB18_56
.LBB18_41:                              ;   Parent Loop BB18_15 Depth=1
                                        ; =>  This Loop Header: Depth=2
                                        ;       Child Loop BB18_44 Depth 3
                                        ;         Child Loop BB18_50 Depth 4
                                        ;         Child Loop BB18_55 Depth 4
	s_and_saveexec_b64 s[54:55], s[2:3]
	s_cbranch_execz .LBB18_40
; %bb.42:                               ;   in Loop: Header=BB18_41 Depth=2
	v_max_i32_e32 v8, s31, v35
	v_add_u32_e32 v8, v8, v34
	v_lshrrev_b32_e32 v8, 1, v8
	s_mul_i32 s79, s78, 0x108
	s_lshl_b32 s12, s78, 3
	v_add_u32_e32 v8, 1, v8
	s_add_i32 s12, s79, s12
	v_and_b32_e32 v38, -2, v8
	v_mov_b32_e32 v8, s12
	ds_read_b64 v[8:9], v8
	v_add_u32_e32 v10, s78, v5
	v_max_i32_e32 v10, s31, v10
	v_add_u32_e32 v11, s78, v23
	v_sub_u32_e32 v10, v10, v11
	s_waitcnt lgkmcnt(0)
	v_mul_f32_e32 v12, v9, v9
	v_fmac_f32_e32 v12, v8, v8
	v_div_scale_f32 v13, s[12:13], v12, v12, 1.0
	v_rcp_f32_e32 v14, v13
	v_add_u32_e32 v15, -2, v10
	v_lshrrev_b32_e32 v16, 1, v15
	v_add_u32_e32 v17, 1, v16
	v_fma_f32 v10, -v13, v14, 1.0
	v_fmac_f32_e32 v14, v10, v14
	v_div_scale_f32 v10, vcc, 1.0, v12, 1.0
	v_mul_f32_e32 v18, v10, v14
	v_fma_f32 v19, -v13, v18, v10
	v_fmac_f32_e32 v18, v19, v14
	v_fma_f32 v10, -v13, v18, v10
	v_div_fmas_f32 v10, v10, v14, v18
	v_mul_hi_u32 v14, v16, s75
	v_div_fixup_f32 v10, v10, v12, 1.0
	v_add_u32_e32 v39, 1, v11
	v_cmp_ne_u32_e64 s[14:15], 0, v14
	v_and_b32_e32 v14, -2, v17
	v_cmp_gt_i32_e32 vcc, s31, v39
	v_mov_b32_e32 v11, v10
	v_mov_b32_e32 v12, v8
	;; [unrolled: 1-line block ×4, first 2 shown]
	v_add_u32_e32 v40, s79, v25
	v_cmp_gt_u32_e64 s[56:57], 42, v15
	v_cmp_lt_u32_e64 s[12:13], 41, v15
	v_mul_lo_u32 v41, v16, s75
	s_mov_b32 s80, 0
	v_lshl_add_u32 v42, v14, 1, v39
	v_cmp_ne_u32_e64 s[16:17], v17, v14
	s_mov_b64 s[58:59], 0
	v_mov_b32_e32 v43, v31
	v_mov_b32_e32 v44, v37
	;; [unrolled: 1-line block ×3, first 2 shown]
	s_branch .LBB18_44
.LBB18_43:                              ;   in Loop: Header=BB18_44 Depth=3
	s_or_b64 exec, exec, s[60:61]
	v_add_u32_e32 v45, 32, v45
	s_add_i32 s80, s80, 1
	v_cmp_le_i32_e64 s[18:19], s31, v45
	v_add_u32_e32 v44, 0x100, v44
	s_or_b64 s[58:59], s[18:19], s[58:59]
	v_add_u32_e32 v43, 0x100, v43
	s_andn2_b64 exec, exec, s[58:59]
	s_cbranch_execz .LBB18_40
.LBB18_44:                              ;   Parent Loop BB18_15 Depth=1
                                        ;     Parent Loop BB18_41 Depth=2
                                        ; =>    This Loop Header: Depth=3
                                        ;         Child Loop BB18_50 Depth 4
                                        ;         Child Loop BB18_55 Depth 4
	v_lshl_add_u32 v16, v45, 3, s79
	ds_read_b64 v[14:15], v16 offset:8448
	s_waitcnt lgkmcnt(0)
	v_pk_mul_f32 v[18:19], v[8:9], v[14:15] op_sel:[0,1] op_sel_hi:[1,0] neg_hi:[0,1]
	v_pk_fma_f32 v[14:15], v[14:15], v[12:13], v[18:19]
	v_pk_mul_f32 v[14:15], v[10:11], v[14:15]
	s_and_saveexec_b64 s[18:19], s[8:9]
	s_cbranch_execz .LBB18_46
; %bb.45:                               ;   in Loop: Header=BB18_44 Depth=3
	v_add_u32_e32 v16, 0x2100, v16
	ds_write_b64 v16, v[14:15]
.LBB18_46:                              ;   in Loop: Header=BB18_44 Depth=3
	s_or_b64 exec, exec, s[18:19]
	s_and_saveexec_b64 s[60:61], vcc
	s_cbranch_execz .LBB18_43
; %bb.47:                               ;   in Loop: Header=BB18_44 Depth=3
	s_mov_b64 s[18:19], s[56:57]
	v_mov_b32_e32 v18, v39
	s_and_saveexec_b64 s[62:63], s[12:13]
	s_cbranch_execz .LBB18_53
; %bb.48:                               ;   in Loop: Header=BB18_44 Depth=3
	v_lshl_add_u32 v16, s80, 8, v40
	v_add_u32_e32 v17, 0x10c, v16
	v_add_u32_e32 v18, 0x108, v16
	;; [unrolled: 1-line block ×4, first 2 shown]
	v_cmp_lt_u32_e64 s[18:19], v19, v17
	v_add_u32_e32 v16, 0x108, v16
	s_or_b64 s[64:65], s[18:19], s[14:15]
	v_cmp_lt_u32_e64 s[18:19], v16, v18
	s_or_b64 s[18:19], s[18:19], s[14:15]
	s_or_b64 s[64:65], s[64:65], s[18:19]
	s_mov_b64 s[18:19], -1
	s_xor_b64 s[66:67], s[64:65], -1
	v_mov_b32_e32 v18, v39
	s_and_saveexec_b64 s[64:65], s[66:67]
	s_cbranch_execz .LBB18_52
; %bb.49:                               ;   in Loop: Header=BB18_44 Depth=3
	v_xor_b32_e32 v16, 0x80000000, v14
	v_xor_b32_e32 v20, 0x80000000, v15
	v_mov_b32_e32 v17, v16
	v_mov_b32_e32 v18, v15
	;; [unrolled: 1-line block ×4, first 2 shown]
	s_mov_b64 s[66:67], 0
	v_mov_b32_e32 v46, v38
	v_mov_b32_e32 v47, v36
	;; [unrolled: 1-line block ×3, first 2 shown]
.LBB18_50:                              ;   Parent Loop BB18_15 Depth=1
                                        ;     Parent Loop BB18_41 Depth=2
                                        ;       Parent Loop BB18_44 Depth=3
                                        ; =>      This Inner Loop Header: Depth=4
	ds_read2_b64 v[50:53], v47 offset1:66
	ds_read2_b64 v[54:57], v48 offset1:66
	v_add_u32_e32 v46, -2, v46
	v_cmp_eq_u32_e64 s[18:19], 0, v46
	s_or_b64 s[66:67], s[18:19], s[66:67]
	s_waitcnt lgkmcnt(1)
	v_mov_b32_e32 v58, v50
	v_mov_b32_e32 v59, v52
	;; [unrolled: 1-line block ×3, first 2 shown]
	s_waitcnt lgkmcnt(0)
	v_mov_b32_e32 v50, v54
	v_mov_b32_e32 v51, v56
	;; [unrolled: 1-line block ×3, first 2 shown]
	v_pk_fma_f32 v[50:51], v[16:17], v[58:59], v[50:51]
	v_pk_fma_f32 v[54:55], v[20:21], v[58:59], v[56:57]
	v_pk_fma_f32 v[50:51], v[18:19], v[52:53], v[50:51]
	v_pk_fma_f32 v[52:53], v[16:17], v[52:53], v[54:55]
	v_mov_b32_e32 v54, v50
	v_mov_b32_e32 v55, v52
	v_mov_b32_e32 v52, v51
	ds_write2_b64 v48, v[54:55], v[52:53] offset1:66
	v_add_u32_e32 v48, 0x420, v48
	v_add_u32_e32 v47, 0x420, v47
	s_andn2_b64 exec, exec, s[66:67]
	s_cbranch_execnz .LBB18_50
; %bb.51:                               ;   in Loop: Header=BB18_44 Depth=3
	s_or_b64 exec, exec, s[66:67]
	s_orn2_b64 s[18:19], s[16:17], exec
	v_mov_b32_e32 v18, v42
.LBB18_52:                              ;   in Loop: Header=BB18_44 Depth=3
	s_or_b64 exec, exec, s[64:65]
	s_andn2_b64 s[64:65], s[56:57], exec
	s_and_b64 s[18:19], s[18:19], exec
	s_or_b64 s[18:19], s[64:65], s[18:19]
.LBB18_53:                              ;   in Loop: Header=BB18_44 Depth=3
	s_or_b64 exec, exec, s[62:63]
	s_and_b64 exec, exec, s[18:19]
	s_cbranch_execz .LBB18_43
; %bb.54:                               ;   in Loop: Header=BB18_44 Depth=3
	v_xor_b32_e32 v17, 0x80000000, v14
	v_mov_b32_e32 v16, v15
	v_mul_lo_u32 v19, v18, s47
	s_mov_b64 s[62:63], 0
.LBB18_55:                              ;   Parent Loop BB18_15 Depth=1
                                        ;     Parent Loop BB18_41 Depth=2
                                        ;       Parent Loop BB18_44 Depth=3
                                        ; =>      This Inner Loop Header: Depth=4
	v_add_u32_e32 v20, s77, v19
	v_add_u32_e32 v48, v43, v19
	ds_read_b64 v[20:21], v20
	ds_read_b64 v[46:47], v48
	v_add_u32_e32 v18, 2, v18
	v_cmp_le_i32_e64 s[18:19], s31, v18
	v_add_u32_e32 v19, 0x210, v19
	s_or_b64 s[62:63], s[18:19], s[62:63]
	s_waitcnt lgkmcnt(0)
	v_pk_fma_f32 v[46:47], v[14:15], v[20:21], v[46:47] op_sel_hi:[1,0,1] neg_lo:[1,0,0] neg_hi:[1,0,0]
	v_pk_fma_f32 v[20:21], v[16:17], v[20:21], v[46:47] op_sel:[0,1,0]
	ds_write_b64 v48, v[20:21]
	s_andn2_b64 exec, exec, s[62:63]
	s_cbranch_execnz .LBB18_55
	s_branch .LBB18_43
.LBB18_56:                              ;   in Loop: Header=BB18_15 Depth=1
	s_and_saveexec_b64 s[12:13], s[2:3]
	s_cbranch_execz .LBB18_66
; %bb.57:                               ;   in Loop: Header=BB18_15 Depth=1
	s_mul_i32 s56, s48, s31
	s_mov_b64 s[14:15], 0
	v_mov_b32_e32 v9, v25
	v_mov_b32_e32 v12, v26
	;; [unrolled: 1-line block ×3, first 2 shown]
	s_branch .LBB18_59
.LBB18_58:                              ;   in Loop: Header=BB18_59 Depth=2
	s_or_b64 exec, exec, s[16:17]
	v_add_u32_e32 v8, 32, v8
	v_cmp_le_i32_e32 vcc, s31, v8
	v_add_u32_e32 v12, s74, v12
	s_or_b64 s[14:15], vcc, s[14:15]
	v_add_u32_e32 v9, 0x100, v9
	s_andn2_b64 exec, exec, s[14:15]
	s_cbranch_execz .LBB18_66
.LBB18_59:                              ;   Parent Loop BB18_15 Depth=1
                                        ; =>  This Loop Header: Depth=2
                                        ;       Child Loop BB18_62 Depth 3
	s_and_saveexec_b64 s[16:17], s[6:7]
	s_cbranch_execz .LBB18_58
; %bb.60:                               ;   in Loop: Header=BB18_59 Depth=2
	s_mov_b64 s[18:19], 0
	v_mov_b32_e32 v13, v9
	v_mov_b32_e32 v14, v23
	s_branch .LBB18_62
.LBB18_61:                              ;   in Loop: Header=BB18_62 Depth=3
	v_ashrrev_i32_e32 v11, 31, v10
	v_lshlrev_b64 v[10:11], 3, v[10:11]
	ds_read_b64 v[16:17], v13
	v_mov_b32_e32 v15, s25
	v_add_co_u32_e32 v10, vcc, s24, v10
	v_addc_co_u32_e32 v11, vcc, v15, v11, vcc
	v_add_u32_e32 v14, 2, v14
	v_cmp_le_i32_e32 vcc, s31, v14
	s_or_b64 s[18:19], vcc, s[18:19]
	v_add_u32_e32 v13, 0x210, v13
	s_waitcnt lgkmcnt(0)
	global_store_dwordx2 v[10:11], v[16:17], off
	s_andn2_b64 exec, exec, s[18:19]
	s_cbranch_execz .LBB18_58
.LBB18_62:                              ;   Parent Loop BB18_15 Depth=1
                                        ;     Parent Loop BB18_59 Depth=2
                                        ; =>    This Inner Loop Header: Depth=3
	s_and_b64 vcc, exec, s[50:51]
	s_cbranch_vccz .LBB18_64
; %bb.63:                               ;   in Loop: Header=BB18_62 Depth=3
	v_add_u32_e32 v10, s56, v14
	v_mad_u64_u32 v[10:11], s[54:55], v10, s31, v[8:9]
	s_cbranch_execnz .LBB18_61
	s_branch .LBB18_65
.LBB18_64:                              ;   in Loop: Header=BB18_62 Depth=3
                                        ; implicit-def: $vgpr10
.LBB18_65:                              ;   in Loop: Header=BB18_62 Depth=3
	v_add_u32_e32 v10, v12, v14
	s_branch .LBB18_61
.LBB18_66:                              ;   in Loop: Header=BB18_15 Depth=1
	s_or_b64 exec, exec, s[12:13]
	s_sub_i32 s58, s76, s34
	s_add_i32 s12, s49, 1
	s_cmp_ge_i32 s12, s58
	s_cbranch_scc1 .LBB18_14
; %bb.67:                               ;   in Loop: Header=BB18_15 Depth=1
	s_mul_i32 s13, s31, s12
	v_add_u32_e32 v8, s13, v22
	v_mul_lo_u32 v14, s31, v8
	s_branch .LBB18_71
.LBB18_68:                              ;   in Loop: Header=BB18_71 Depth=2
	s_or_b64 exec, exec, s[16:17]
.LBB18_69:                              ;   in Loop: Header=BB18_71 Depth=2
	s_or_b64 exec, exec, s[14:15]
.LBB18_70:                              ;   in Loop: Header=BB18_71 Depth=2
	s_add_i32 s12, s12, 1
	s_cmp_lt_i32 s12, s58
	v_add_u32_e32 v14, s73, v14
	s_waitcnt lgkmcnt(0)
	s_cbranch_scc0 .LBB18_14
.LBB18_71:                              ;   Parent Loop BB18_15 Depth=1
                                        ; =>  This Loop Header: Depth=2
                                        ;       Child Loop BB18_76 Depth 3
                                        ;       Child Loop BB18_85 Depth 3
                                        ;         Child Loop BB18_88 Depth 4
                                        ;       Child Loop BB18_94 Depth 3
                                        ;         Child Loop BB18_97 Depth 4
                                        ;           Child Loop BB18_98 Depth 5
	s_ashr_i32 s13, s12, 31
	s_lshl_b64 s[14:15], s[12:13], 2
	s_add_u32 s14, s22, s14
	s_addc_u32 s15, s23, s15
	global_load_dword v8, v32, s[14:15]
	v_mov_b32_e32 v9, s45
	s_and_saveexec_b64 s[14:15], s[10:11]
	s_cbranch_execz .LBB18_73
; %bb.72:                               ;   in Loop: Header=BB18_71 Depth=2
	global_load_dword v9, v[6:7], off
	s_waitcnt vmcnt(0)
	v_subrev_u32_e32 v9, s34, v9
.LBB18_73:                              ;   in Loop: Header=BB18_71 Depth=2
	s_or_b64 exec, exec, s[14:15]
	s_waitcnt vmcnt(0)
	v_subrev_u32_e32 v10, s34, v8
	v_cmp_lt_i32_e32 vcc, v9, v10
	v_mov_b32_e32 v11, v4
	s_and_saveexec_b64 s[14:15], vcc
	s_cbranch_execz .LBB18_79
; %bb.74:                               ;   in Loop: Header=BB18_71 Depth=2
	s_mov_b64 s[16:17], 0
	v_mov_b32_e32 v8, v4
	s_branch .LBB18_76
.LBB18_75:                              ;   in Loop: Header=BB18_76 Depth=3
	s_or_b64 exec, exec, s[18:19]
	v_cmp_ge_i32_e32 vcc, v9, v10
	s_or_b64 s[16:17], vcc, s[16:17]
	v_mov_b32_e32 v8, v11
	s_andn2_b64 exec, exec, s[16:17]
	s_cbranch_execz .LBB18_78
.LBB18_76:                              ;   Parent Loop BB18_15 Depth=1
                                        ;     Parent Loop BB18_71 Depth=2
                                        ; =>    This Inner Loop Header: Depth=3
	v_add_u32_e32 v11, 64, v8
	v_cmp_gt_i32_e32 vcc, s33, v11
	v_mov_b32_e32 v9, s45
	s_and_saveexec_b64 s[18:19], vcc
	s_cbranch_execz .LBB18_75
; %bb.77:                               ;   in Loop: Header=BB18_76 Depth=3
	v_ashrrev_i32_e32 v9, 31, v8
	v_lshlrev_b64 v[8:9], 2, v[8:9]
	v_mov_b32_e32 v12, s72
	v_add_co_u32_e32 v8, vcc, s71, v8
	v_addc_co_u32_e32 v9, vcc, v12, v9, vcc
	global_load_dword v8, v[8:9], off
	s_waitcnt vmcnt(0)
	v_subrev_u32_e32 v9, s34, v8
	s_branch .LBB18_75
.LBB18_78:                              ;   in Loop: Header=BB18_71 Depth=2
	s_or_b64 exec, exec, s[16:17]
.LBB18_79:                              ;   in Loop: Header=BB18_71 Depth=2
	s_or_b64 exec, exec, s[14:15]
	v_cmp_eq_u32_e32 vcc, v9, v10
	s_cbranch_vccz .LBB18_70
; %bb.80:                               ;   in Loop: Header=BB18_71 Depth=2
	s_ff1_i32_b64 s13, vcc
	v_and_or_b32 v8, v33, 64, s13
	v_lshlrev_b32_e32 v8, 2, v8
	ds_bpermute_b32 v9, v8, v11
	s_and_saveexec_b64 s[14:15], s[4:5]
	s_xor_b64 s[14:15], exec, s[14:15]
	s_cbranch_execz .LBB18_82
; %bb.81:                               ;   in Loop: Header=BB18_71 Depth=2
	s_waitcnt lgkmcnt(0)
                                        ; implicit-def: $vgpr9
.LBB18_82:                              ;   in Loop: Header=BB18_71 Depth=2
	s_andn2_saveexec_b64 s[14:15], s[14:15]
	s_cbranch_execz .LBB18_69
; %bb.83:                               ;   in Loop: Header=BB18_71 Depth=2
	s_mul_i32 s13, s12, s31
	s_mov_b64 s[16:17], 0
	v_mov_b32_e32 v12, v24
	v_mov_b32_e32 v13, v14
	;; [unrolled: 1-line block ×3, first 2 shown]
	s_branch .LBB18_85
.LBB18_84:                              ;   in Loop: Header=BB18_85 Depth=3
	s_or_b64 exec, exec, s[18:19]
	v_add_u32_e32 v8, 32, v8
	v_cmp_le_i32_e32 vcc, s31, v8
	v_add_u32_e32 v13, s74, v13
	s_or_b64 s[16:17], vcc, s[16:17]
	v_add_u32_e32 v12, 0x100, v12
	s_andn2_b64 exec, exec, s[16:17]
	s_cbranch_execz .LBB18_92
.LBB18_85:                              ;   Parent Loop BB18_15 Depth=1
                                        ;     Parent Loop BB18_71 Depth=2
                                        ; =>    This Loop Header: Depth=3
                                        ;         Child Loop BB18_88 Depth 4
	s_and_saveexec_b64 s[18:19], s[6:7]
	s_cbranch_execz .LBB18_84
; %bb.86:                               ;   in Loop: Header=BB18_85 Depth=3
	s_mov_b64 s[54:55], 0
	v_mov_b32_e32 v15, v12
	v_mov_b32_e32 v16, v23
	s_branch .LBB18_88
.LBB18_87:                              ;   in Loop: Header=BB18_88 Depth=4
	v_ashrrev_i32_e32 v11, 31, v10
	v_lshlrev_b64 v[10:11], 3, v[10:11]
	v_mov_b32_e32 v17, s25
	v_add_co_u32_e32 v10, vcc, s24, v10
	v_addc_co_u32_e32 v11, vcc, v17, v11, vcc
	global_load_dwordx2 v[10:11], v[10:11], off
	v_add_u32_e32 v16, 2, v16
	v_cmp_le_i32_e32 vcc, s31, v16
	s_or_b64 s[54:55], vcc, s[54:55]
	s_waitcnt vmcnt(0)
	ds_write_b64 v15, v[10:11]
	v_add_u32_e32 v15, 0x210, v15
	s_andn2_b64 exec, exec, s[54:55]
	s_cbranch_execz .LBB18_84
.LBB18_88:                              ;   Parent Loop BB18_15 Depth=1
                                        ;     Parent Loop BB18_71 Depth=2
                                        ;       Parent Loop BB18_85 Depth=3
                                        ; =>      This Inner Loop Header: Depth=4
	s_and_b64 vcc, exec, s[50:51]
	s_cbranch_vccz .LBB18_90
; %bb.89:                               ;   in Loop: Header=BB18_88 Depth=4
	v_add_u32_e32 v10, s13, v16
	s_waitcnt lgkmcnt(0)
	v_mad_u64_u32 v[10:11], s[56:57], v10, s31, v[8:9]
	s_cbranch_execnz .LBB18_87
	s_branch .LBB18_91
.LBB18_90:                              ;   in Loop: Header=BB18_88 Depth=4
                                        ; implicit-def: $vgpr10
.LBB18_91:                              ;   in Loop: Header=BB18_88 Depth=4
	v_add_u32_e32 v10, v13, v16
	s_branch .LBB18_87
.LBB18_92:                              ;   in Loop: Header=BB18_71 Depth=2
	s_or_b64 exec, exec, s[16:17]
	s_waitcnt lgkmcnt(0)
	v_mul_lo_u32 v9, v9, s31
	s_mov_b64 s[16:17], 0
	v_mov_b32_e32 v15, v31
	v_mov_b32_e32 v8, v22
	s_branch .LBB18_94
.LBB18_93:                              ;   in Loop: Header=BB18_94 Depth=3
	s_or_b64 exec, exec, s[18:19]
	v_add_u32_e32 v8, 32, v8
	v_cmp_le_i32_e32 vcc, s31, v8
	s_or_b64 s[16:17], vcc, s[16:17]
	v_add_u32_e32 v15, 0x100, v15
	s_andn2_b64 exec, exec, s[16:17]
	s_cbranch_execz .LBB18_68
.LBB18_94:                              ;   Parent Loop BB18_15 Depth=1
                                        ;     Parent Loop BB18_71 Depth=2
                                        ; =>    This Loop Header: Depth=3
                                        ;         Child Loop BB18_97 Depth 4
                                        ;           Child Loop BB18_98 Depth 5
	s_and_saveexec_b64 s[18:19], s[6:7]
	s_cbranch_execz .LBB18_93
; %bb.95:                               ;   in Loop: Header=BB18_94 Depth=3
	v_add_u32_e32 v10, v8, v9
	v_mul_lo_u32 v16, v10, s31
	s_mov_b64 s[54:55], 0
	v_mov_b32_e32 v17, v27
	v_mov_b32_e32 v18, v23
	s_branch .LBB18_97
.LBB18_96:                              ;   in Loop: Header=BB18_97 Depth=4
	v_ashrrev_i32_e32 v13, 31, v12
	v_lshlrev_b64 v[12:13], 3, v[12:13]
	v_mov_b32_e32 v19, s25
	v_add_co_u32_e32 v12, vcc, s24, v12
	v_addc_co_u32_e32 v13, vcc, v19, v13, vcc
	global_load_dwordx2 v[20:21], v[12:13], off
	v_add_u32_e32 v18, 2, v18
	v_cmp_le_i32_e32 vcc, s31, v18
	s_or_b64 s[54:55], vcc, s[54:55]
	v_add_u32_e32 v17, 0x210, v17
	s_waitcnt vmcnt(0)
	v_pk_add_f32 v[10:11], v[20:21], v[10:11] neg_lo:[0,1] neg_hi:[0,1]
	global_store_dwordx2 v[12:13], v[10:11], off
	s_andn2_b64 exec, exec, s[54:55]
	s_cbranch_execz .LBB18_93
.LBB18_97:                              ;   Parent Loop BB18_15 Depth=1
                                        ;     Parent Loop BB18_71 Depth=2
                                        ;       Parent Loop BB18_94 Depth=3
                                        ; =>      This Loop Header: Depth=4
                                        ;           Child Loop BB18_98 Depth 5
	v_mov_b32_e32 v10, 0
	v_mov_b32_e32 v12, v15
	;; [unrolled: 1-line block ×3, first 2 shown]
	s_mov_b32 s13, s31
	v_mov_b32_e32 v11, v10
.LBB18_98:                              ;   Parent Loop BB18_15 Depth=1
                                        ;     Parent Loop BB18_71 Depth=2
                                        ;       Parent Loop BB18_94 Depth=3
                                        ;         Parent Loop BB18_97 Depth=4
                                        ; =>        This Inner Loop Header: Depth=5
	ds_read_b64 v[20:21], v13
	ds_read_b64 v[34:35], v12
	s_add_i32 s13, s13, -1
	v_add_u32_e32 v13, 8, v13
	v_add_u32_e32 v12, 0x108, v12
	s_cmp_eq_u32 s13, 0
	s_waitcnt lgkmcnt(0)
	v_pk_fma_f32 v[10:11], v[34:35], v[20:21], v[10:11] op_sel_hi:[1,0,1]
	v_pk_fma_f32 v[10:11], v[34:35], v[20:21], v[10:11] op_sel:[1,1,0] op_sel_hi:[0,1,1] neg_lo:[1,0,0]
	s_cbranch_scc0 .LBB18_98
; %bb.99:                               ;   in Loop: Header=BB18_97 Depth=4
	s_and_b64 vcc, exec, s[50:51]
	s_cbranch_vccz .LBB18_101
; %bb.100:                              ;   in Loop: Header=BB18_97 Depth=4
	v_add_u32_e32 v12, v18, v9
	v_mad_u64_u32 v[12:13], s[56:57], v12, s31, v[8:9]
	s_cbranch_execnz .LBB18_96
	s_branch .LBB18_102
.LBB18_101:                             ;   in Loop: Header=BB18_97 Depth=4
                                        ; implicit-def: $vgpr12
.LBB18_102:                             ;   in Loop: Header=BB18_97 Depth=4
	v_add_u32_e32 v12, v18, v16
	s_branch .LBB18_96
.LBB18_103:
	s_ashr_i32 s45, s44, 31
	s_lshl_b64 s[2:3], s[44:45], 2
	s_add_u32 s2, s22, s2
	s_addc_u32 s3, s23, s3
	v_mov_b32_e32 v4, 0
	global_load_dword v4, v4, s[2:3]
	s_waitcnt vmcnt(0)
	v_subrev_u32_e32 v4, s34, v4
	v_cmp_ne_u32_e32 vcc, s30, v4
	s_cbranch_vccnz .LBB18_154
; %bb.104:
	v_and_b32_e32 v4, 0x3ff, v0
	v_cmp_gt_i32_e64 s[2:3], s31, v4
	v_lshlrev_b32_e32 v5, 3, v4
	s_and_saveexec_b64 s[6:7], s[2:3]
	s_cbranch_execz .LBB18_115
; %bb.105:
	s_mul_i32 s18, s44, s31
	v_add_u32_e32 v6, s18, v4
	v_bfe_u32 v7, v0, 10, 10
	s_cmp_lg_u32 s46, 0
	v_mul_lo_u32 v10, s31, v6
	v_lshlrev_b32_e32 v6, 3, v4
	s_movk_i32 s10, 0x108
	v_cmp_gt_u32_e64 s[4:5], s31, v7
	s_cselect_b64 s[8:9], -1, 0
	s_lshl_b32 s19, s31, 5
	v_mad_u32_u24 v11, v7, s10, v6
	s_mov_b64 s[10:11], 0
	v_mov_b32_e32 v6, v4
	s_branch .LBB18_107
.LBB18_106:                             ;   in Loop: Header=BB18_107 Depth=1
	s_or_b64 exec, exec, s[12:13]
	v_add_u32_e32 v6, 32, v6
	v_cmp_le_i32_e32 vcc, s31, v6
	v_add_u32_e32 v10, s19, v10
	s_or_b64 s[10:11], vcc, s[10:11]
	v_add_u32_e32 v11, 0x100, v11
	s_andn2_b64 exec, exec, s[10:11]
	s_cbranch_execz .LBB18_115
.LBB18_107:                             ; =>This Loop Header: Depth=1
                                        ;     Child Loop BB18_110 Depth 2
	s_and_saveexec_b64 s[12:13], s[4:5]
	s_cbranch_execz .LBB18_106
; %bb.108:                              ;   in Loop: Header=BB18_107 Depth=1
	s_mov_b64 s[14:15], 0
	v_mov_b32_e32 v12, v11
	v_mov_b32_e32 v13, v7
	s_branch .LBB18_110
.LBB18_109:                             ;   in Loop: Header=BB18_110 Depth=2
	v_ashrrev_i32_e32 v9, 31, v8
	v_lshlrev_b64 v[8:9], 3, v[8:9]
	v_mov_b32_e32 v14, s25
	v_add_co_u32_e32 v8, vcc, s24, v8
	v_addc_co_u32_e32 v9, vcc, v14, v9, vcc
	global_load_dwordx2 v[8:9], v[8:9], off
	v_add_u32_e32 v13, 2, v13
	v_cmp_le_i32_e32 vcc, s31, v13
	s_or_b64 s[14:15], vcc, s[14:15]
	s_waitcnt vmcnt(0)
	ds_write_b64 v12, v[8:9]
	v_add_u32_e32 v12, 0x210, v12
	s_andn2_b64 exec, exec, s[14:15]
	s_cbranch_execz .LBB18_106
.LBB18_110:                             ;   Parent Loop BB18_107 Depth=1
                                        ; =>  This Inner Loop Header: Depth=2
	s_and_b64 vcc, exec, s[8:9]
	s_cbranch_vccz .LBB18_112
; %bb.111:                              ;   in Loop: Header=BB18_110 Depth=2
	v_add_u32_e32 v8, s18, v13
	v_mad_u64_u32 v[8:9], s[16:17], v8, s31, v[6:7]
	s_cbranch_execnz .LBB18_109
	s_branch .LBB18_113
.LBB18_112:                             ;   in Loop: Header=BB18_110 Depth=2
                                        ; implicit-def: $vgpr8
.LBB18_113:                             ;   in Loop: Header=BB18_110 Depth=2
	v_add_u32_e32 v8, v10, v13
	s_branch .LBB18_109
.LBB18_114:
	s_mov_b64 s[42:43], -1
	s_branch .LBB18_187
.LBB18_115:
	s_or_b64 exec, exec, s[6:7]
	s_cmp_lt_i32 s31, 1
	s_waitcnt lgkmcnt(0)
	s_cbranch_scc1 .LBB18_143
; %bb.116:
	s_cmp_eq_u64 s[36:37], 8
	v_cvt_f64_f32_e32 v[6:7], v1
	s_cselect_b64 vcc, -1, 0
	v_bfe_u32 v1, v0, 10, 10
	v_cndmask_b32_e32 v2, v6, v2, vcc
	v_or_b32_e32 v6, v4, v1
	s_movk_i32 s8, 0x108
	v_cndmask_b32_e32 v3, v7, v3, vcc
	s_mov_b32 s19, 0
	v_cmp_eq_u32_e64 s[4:5], 0, v6
	v_cmp_eq_u32_e64 s[6:7], 0, v1
	v_mad_u32_u24 v16, v1, s8, s8
	s_mov_b32 s18, 0xf800000
	v_mov_b32_e32 v17, 0x260
.LBB18_117:                             ; =>This Loop Header: Depth=1
                                        ;     Child Loop BB18_135 Depth 2
                                        ;       Child Loop BB18_139 Depth 3
	s_lshl_b32 s8, s19, 3
	s_mul_i32 s20, s19, 0x108
	s_add_i32 s12, s20, s8
	v_mov_b32_e32 v6, s12
	s_waitcnt lgkmcnt(0)
	ds_read_b64 v[8:9], v6
	s_and_b64 vcc, exec, s[0:1]
	s_mov_b64 s[10:11], 0
	s_cbranch_vccnz .LBB18_122
; %bb.118:                              ;   in Loop: Header=BB18_117 Depth=1
	s_waitcnt lgkmcnt(0)
	v_cmp_gt_f32_e32 vcc, 0, v8
	v_cndmask_b32_e64 v6, v8, -v8, vcc
	v_cmp_gt_f32_e32 vcc, 0, v9
	v_cndmask_b32_e64 v7, v9, -v9, vcc
	v_cmp_ngt_f32_e32 vcc, v6, v7
	s_cbranch_vccz .LBB18_123
; %bb.119:                              ;   in Loop: Header=BB18_117 Depth=1
	v_cmp_eq_f32_e32 vcc, 0, v9
	v_mov_b32_e32 v10, 0
	s_cbranch_vccnz .LBB18_121
; %bb.120:                              ;   in Loop: Header=BB18_117 Depth=1
	v_div_scale_f32 v10, s[8:9], v7, v7, v6
	v_rcp_f32_e32 v11, v10
	v_div_scale_f32 v12, vcc, v6, v7, v6
	v_fma_f32 v13, -v10, v11, 1.0
	v_fmac_f32_e32 v11, v13, v11
	v_mul_f32_e32 v13, v12, v11
	v_fma_f32 v14, -v10, v13, v12
	v_fmac_f32_e32 v13, v14, v11
	v_fma_f32 v10, -v10, v13, v12
	v_div_fmas_f32 v10, v10, v11, v13
	v_div_fixup_f32 v10, v10, v7, v6
	v_fma_f32 v10, v10, v10, 1.0
	v_mul_f32_e32 v11, 0x4f800000, v10
	v_cmp_gt_f32_e32 vcc, s18, v10
	v_cndmask_b32_e32 v10, v10, v11, vcc
	v_sqrt_f32_e32 v11, v10
	v_add_u32_e32 v12, -1, v11
	v_fma_f32 v13, -v12, v11, v10
	v_cmp_ge_f32_e64 s[8:9], 0, v13
	v_add_u32_e32 v13, 1, v11
	v_cndmask_b32_e64 v12, v11, v12, s[8:9]
	v_fma_f32 v11, -v13, v11, v10
	v_cmp_lt_f32_e64 s[8:9], 0, v11
	v_cndmask_b32_e64 v11, v12, v13, s[8:9]
	v_mul_f32_e32 v12, 0x37800000, v11
	v_cndmask_b32_e32 v11, v11, v12, vcc
	v_cmp_class_f32_e32 vcc, v10, v17
	v_cndmask_b32_e32 v10, v11, v10, vcc
	v_mul_f32_e32 v10, v7, v10
.LBB18_121:                             ;   in Loop: Header=BB18_117 Depth=1
	s_cbranch_execz .LBB18_124
	s_branch .LBB18_125
.LBB18_122:                             ;   in Loop: Header=BB18_117 Depth=1
                                        ; implicit-def: $vgpr6_vgpr7
	s_mov_b64 s[8:9], 0
	s_cbranch_execnz .LBB18_128
	s_branch .LBB18_129
.LBB18_123:                             ;   in Loop: Header=BB18_117 Depth=1
                                        ; implicit-def: $vgpr10
.LBB18_124:                             ;   in Loop: Header=BB18_117 Depth=1
	v_div_scale_f32 v10, s[8:9], v6, v6, v7
	v_rcp_f32_e32 v11, v10
	v_div_scale_f32 v12, vcc, v7, v6, v7
	v_fma_f32 v13, -v10, v11, 1.0
	v_fmac_f32_e32 v11, v13, v11
	v_mul_f32_e32 v13, v12, v11
	v_fma_f32 v14, -v10, v13, v12
	v_fmac_f32_e32 v13, v14, v11
	v_fma_f32 v10, -v10, v13, v12
	v_div_fmas_f32 v10, v10, v11, v13
	v_div_fixup_f32 v7, v10, v6, v7
	v_fma_f32 v7, v7, v7, 1.0
	v_mul_f32_e32 v10, 0x4f800000, v7
	v_cmp_gt_f32_e32 vcc, s18, v7
	v_cndmask_b32_e32 v7, v7, v10, vcc
	v_sqrt_f32_e32 v10, v7
	v_add_u32_e32 v11, -1, v10
	v_fma_f32 v12, -v11, v10, v7
	v_cmp_ge_f32_e64 s[8:9], 0, v12
	v_add_u32_e32 v12, 1, v10
	v_cndmask_b32_e64 v11, v10, v11, s[8:9]
	v_fma_f32 v10, -v12, v10, v7
	v_cmp_lt_f32_e64 s[8:9], 0, v10
	v_cndmask_b32_e64 v10, v11, v12, s[8:9]
	v_mul_f32_e32 v11, 0x37800000, v10
	v_cndmask_b32_e32 v10, v10, v11, vcc
	v_cmp_class_f32_e32 vcc, v7, v17
	v_cndmask_b32_e32 v7, v10, v7, vcc
	v_mul_f32_e32 v10, v6, v7
.LBB18_125:                             ;   in Loop: Header=BB18_117 Depth=1
	v_cvt_f64_f32_e32 v[6:7], v10
	v_mov_b32_e32 v10, s68
	v_cmp_ge_f64_e32 vcc, v[2:3], v[6:7]
	v_mov_b32_e32 v6, s35
	v_cndmask_b32_e32 v7, v9, v10, vcc
	v_cndmask_b32_e32 v6, v8, v6, vcc
	s_and_saveexec_b64 s[8:9], s[4:5]
	s_cbranch_execz .LBB18_127
; %bb.126:                              ;   in Loop: Header=BB18_117 Depth=1
	v_mov_b32_e32 v10, s12
	ds_write_b64 v10, v[6:7]
.LBB18_127:                             ;   in Loop: Header=BB18_117 Depth=1
	s_or_b64 exec, exec, s[8:9]
	s_mov_b64 s[8:9], -1
	s_branch .LBB18_129
.LBB18_128:                             ;   in Loop: Header=BB18_117 Depth=1
	s_waitcnt lgkmcnt(0)
	v_cmp_neq_f32_e32 vcc, 0, v8
	v_cmp_neq_f32_e64 s[8:9], 0, v9
	s_or_b64 s[8:9], vcc, s[8:9]
	s_mov_b64 s[10:11], -1
	v_pk_mov_b32 v[6:7], v[8:9], v[8:9] op_sel:[0,1]
.LBB18_129:                             ;   in Loop: Header=BB18_117 Depth=1
	s_andn2_b64 vcc, exec, s[8:9]
                                        ; implicit-def: $sgpr21
	s_cbranch_vccz .LBB18_132
; %bb.130:                              ;   in Loop: Header=BB18_117 Depth=1
	s_andn2_b64 vcc, exec, s[10:11]
	s_cbranch_vccz .LBB18_141
.LBB18_131:                             ;   in Loop: Header=BB18_117 Depth=1
	s_cmp_eq_u32 s21, s31
	s_cbranch_scc0 .LBB18_142
	s_branch .LBB18_143
.LBB18_132:                             ;   in Loop: Header=BB18_117 Depth=1
	s_add_i32 s21, s19, 1
	v_add_u32_e32 v18, s21, v4
	v_cmp_gt_i32_e32 vcc, s31, v18
	s_and_saveexec_b64 s[10:11], vcc
	s_cbranch_execz .LBB18_140
; %bb.133:                              ;   in Loop: Header=BB18_117 Depth=1
	s_waitcnt lgkmcnt(0)
	v_mul_f32_e32 v8, v7, v7
	v_fmac_f32_e32 v8, v6, v6
	v_div_scale_f32 v9, s[8:9], v8, v8, 1.0
	v_rcp_f32_e32 v10, v9
	v_div_scale_f32 v11, vcc, 1.0, v8, 1.0
	v_add_u32_e32 v19, s21, v1
	v_fma_f32 v12, -v9, v10, 1.0
	v_fmac_f32_e32 v10, v12, v10
	v_mul_f32_e32 v12, v11, v10
	v_fma_f32 v13, -v9, v12, v11
	v_fmac_f32_e32 v12, v13, v10
	v_fma_f32 v9, -v9, v12, v11
	v_div_fmas_f32 v9, v9, v10, v12
	v_div_fixup_f32 v8, v9, v8, 1.0
	s_mul_i32 s8, s19, 0x110
	v_cmp_gt_i32_e32 vcc, s31, v19
	v_mov_b32_e32 v9, v8
	v_mov_b32_e32 v10, v6
	;; [unrolled: 1-line block ×4, first 2 shown]
	v_add_u32_e32 v20, s8, v16
	s_mov_b64 s[12:13], 0
	v_mov_b32_e32 v21, v5
	s_branch .LBB18_135
.LBB18_134:                             ;   in Loop: Header=BB18_135 Depth=2
	s_or_b64 exec, exec, s[14:15]
	v_add_u32_e32 v18, 32, v18
	v_cmp_le_i32_e64 s[8:9], s31, v18
	s_or_b64 s[12:13], s[8:9], s[12:13]
	v_add_u32_e32 v21, 0x100, v21
	s_andn2_b64 exec, exec, s[12:13]
	s_cbranch_execz .LBB18_140
.LBB18_135:                             ;   Parent Loop BB18_117 Depth=1
                                        ; =>  This Loop Header: Depth=2
                                        ;       Child Loop BB18_139 Depth 3
	v_lshl_add_u32 v14, v18, 3, s20
	ds_read_b64 v[12:13], v14
	s_waitcnt lgkmcnt(0)
	v_pk_mul_f32 v[22:23], v[6:7], v[12:13] op_sel:[0,1] op_sel_hi:[1,0] neg_hi:[0,1]
	v_pk_fma_f32 v[12:13], v[12:13], v[10:11], v[22:23]
	v_pk_mul_f32 v[12:13], v[8:9], v[12:13]
	s_and_saveexec_b64 s[8:9], s[6:7]
	s_cbranch_execz .LBB18_137
; %bb.136:                              ;   in Loop: Header=BB18_135 Depth=2
	ds_write_b64 v14, v[12:13]
.LBB18_137:                             ;   in Loop: Header=BB18_135 Depth=2
	s_or_b64 exec, exec, s[8:9]
	s_and_saveexec_b64 s[14:15], vcc
	s_cbranch_execz .LBB18_134
; %bb.138:                              ;   in Loop: Header=BB18_135 Depth=2
	v_xor_b32_e32 v15, 0x80000000, v12
	v_mov_b32_e32 v14, v13
	s_mov_b64 s[16:17], 0
	v_mov_b32_e32 v22, v20
	v_mov_b32_e32 v23, v19
.LBB18_139:                             ;   Parent Loop BB18_117 Depth=1
                                        ;     Parent Loop BB18_135 Depth=2
                                        ; =>    This Inner Loop Header: Depth=3
	v_add_u32_e32 v28, v22, v21
	ds_read_b64 v[24:25], v22
	ds_read_b64 v[26:27], v28 offset:8
	v_add_u32_e32 v23, 2, v23
	v_cmp_le_i32_e64 s[8:9], s31, v23
	v_add_u32_e32 v22, 0x210, v22
	s_or_b64 s[16:17], s[8:9], s[16:17]
	s_waitcnt lgkmcnt(0)
	v_pk_fma_f32 v[26:27], v[12:13], v[24:25], v[26:27] op_sel_hi:[1,0,1] neg_lo:[1,0,0] neg_hi:[1,0,0]
	v_pk_fma_f32 v[24:25], v[14:15], v[24:25], v[26:27] op_sel:[0,1,0]
	ds_write_b64 v28, v[24:25] offset:8
	s_andn2_b64 exec, exec, s[16:17]
	s_cbranch_execnz .LBB18_139
	s_branch .LBB18_134
.LBB18_140:                             ;   in Loop: Header=BB18_117 Depth=1
	s_or_b64 exec, exec, s[10:11]
	s_cbranch_execnz .LBB18_131
.LBB18_141:                             ;   in Loop: Header=BB18_117 Depth=1
	s_add_i32 s21, s19, 1
	s_mov_b64 s[42:43], -1
	s_cmp_eq_u32 s21, s31
	s_cbranch_scc1 .LBB18_143
.LBB18_142:                             ;   in Loop: Header=BB18_117 Depth=1
	s_mov_b32 s19, s21
	s_branch .LBB18_117
.LBB18_143:
	s_waitcnt lgkmcnt(0)
	s_and_saveexec_b64 s[4:5], s[2:3]
	s_cbranch_execz .LBB18_153
; %bb.144:
	s_mul_i32 s14, s44, s31
	v_bfe_u32 v1, v0, 10, 10
	s_cmp_lg_u32 s46, 0
	v_add_u32_e32 v2, s14, v4
	s_movk_i32 s6, 0x108
	v_cmp_gt_u32_e64 s[0:1], s31, v1
	s_cselect_b64 s[2:3], -1, 0
	v_mul_lo_u32 v6, s31, v2
	s_lshl_b32 s15, s31, 5
	v_mad_u32_u24 v5, v1, s6, v5
	s_mov_b64 s[6:7], 0
	s_branch .LBB18_146
.LBB18_145:                             ;   in Loop: Header=BB18_146 Depth=1
	s_or_b64 exec, exec, s[8:9]
	v_add_u32_e32 v4, 32, v4
	v_cmp_le_i32_e32 vcc, s31, v4
	v_add_u32_e32 v6, s15, v6
	s_or_b64 s[6:7], vcc, s[6:7]
	v_add_u32_e32 v5, 0x100, v5
	s_andn2_b64 exec, exec, s[6:7]
	s_cbranch_execz .LBB18_153
.LBB18_146:                             ; =>This Loop Header: Depth=1
                                        ;     Child Loop BB18_149 Depth 2
	s_and_saveexec_b64 s[8:9], s[0:1]
	s_cbranch_execz .LBB18_145
; %bb.147:                              ;   in Loop: Header=BB18_146 Depth=1
	s_mov_b64 s[10:11], 0
	v_mov_b32_e32 v7, v5
	v_mov_b32_e32 v8, v1
	s_branch .LBB18_149
.LBB18_148:                             ;   in Loop: Header=BB18_149 Depth=2
	v_ashrrev_i32_e32 v3, 31, v2
	v_lshlrev_b64 v[2:3], 3, v[2:3]
	ds_read_b64 v[10:11], v7
	v_mov_b32_e32 v9, s25
	v_add_co_u32_e32 v2, vcc, s24, v2
	v_addc_co_u32_e32 v3, vcc, v9, v3, vcc
	v_add_u32_e32 v8, 2, v8
	v_cmp_le_i32_e32 vcc, s31, v8
	s_or_b64 s[10:11], vcc, s[10:11]
	v_add_u32_e32 v7, 0x210, v7
	s_waitcnt lgkmcnt(0)
	global_store_dwordx2 v[2:3], v[10:11], off
	s_andn2_b64 exec, exec, s[10:11]
	s_cbranch_execz .LBB18_145
.LBB18_149:                             ;   Parent Loop BB18_146 Depth=1
                                        ; =>  This Inner Loop Header: Depth=2
	s_and_b64 vcc, exec, s[2:3]
	s_cbranch_vccz .LBB18_151
; %bb.150:                              ;   in Loop: Header=BB18_149 Depth=2
	v_add_u32_e32 v2, s14, v8
	v_mad_u64_u32 v[2:3], s[12:13], v2, s31, v[4:5]
	s_cbranch_execnz .LBB18_148
	s_branch .LBB18_152
.LBB18_151:                             ;   in Loop: Header=BB18_149 Depth=2
                                        ; implicit-def: $vgpr2
.LBB18_152:                             ;   in Loop: Header=BB18_149 Depth=2
	v_add_u32_e32 v2, v6, v8
	s_branch .LBB18_148
.LBB18_153:
	s_or_b64 exec, exec, s[4:5]
.LBB18_154:
	s_add_i32 s18, s44, 1
	s_cmp_ge_i32 s18, s33
	s_cbranch_scc1 .LBB18_187
; %bb.155:
	v_and_b32_e32 v1, 0x3ff, v0
	s_mul_i32 s4, s31, s18
	v_bfe_u32 v3, v0, 10, 10
	s_cmp_lg_u32 s46, 0
	v_add_u32_e32 v2, s4, v1
	s_cselect_b64 s[8:9], -1, 0
	s_cmp_gt_i32 s31, 0
	v_mul_lo_u32 v7, s31, v2
	v_mul_u32_u24_e32 v2, 0x108, v3
	v_lshlrev_b32_e32 v4, 3, v1
	s_movk_i32 s6, 0x2100
	s_cselect_b64 s[4:5], -1, 0
	v_add3_u32 v8, v2, v4, s6
	v_mul_u32_u24_e32 v2, 0x108, v1
	v_lshlrev_b32_e32 v4, 3, v3
	s_movk_i32 s6, 0x2108
	v_add3_u32 v9, v4, v2, s6
	v_cndmask_b32_e64 v2, 0, 1, s[4:5]
	v_cmp_gt_i32_e64 s[0:1], s31, v1
	v_cmp_gt_i32_e64 s[2:3], s31, v3
	v_add_u32_e32 v6, 1, v3
	s_mul_i32 s19, s31, s31
	s_lshl_b32 s20, s31, 5
	s_movk_i32 s21, 0x108
	v_add_u32_e32 v10, 8, v4
	v_cmp_ne_u32_e64 s[4:5], 1, v2
.LBB18_156:                             ; =>This Loop Header: Depth=1
                                        ;     Child Loop BB18_159 Depth 2
                                        ;       Child Loop BB18_162 Depth 3
                                        ;     Child Loop BB18_169 Depth 2
                                        ;       Child Loop BB18_172 Depth 3
                                        ;         Child Loop BB18_174 Depth 4
                                        ;     Child Loop BB18_178 Depth 2
                                        ;       Child Loop BB18_181 Depth 3
	s_mul_i32 s22, s18, s31
	s_waitcnt lgkmcnt(0)
	s_and_saveexec_b64 s[6:7], s[0:1]
	s_cbranch_execz .LBB18_166
; %bb.157:                              ;   in Loop: Header=BB18_156 Depth=1
	s_mov_b64 s[10:11], 0
	v_mov_b32_e32 v11, v8
	v_mov_b32_e32 v12, v7
	;; [unrolled: 1-line block ×3, first 2 shown]
	s_branch .LBB18_159
.LBB18_158:                             ;   in Loop: Header=BB18_159 Depth=2
	s_or_b64 exec, exec, s[12:13]
	v_add_u32_e32 v2, 32, v2
	v_cmp_le_i32_e32 vcc, s31, v2
	v_add_u32_e32 v12, s20, v12
	s_or_b64 s[10:11], vcc, s[10:11]
	v_add_u32_e32 v11, 0x100, v11
	s_andn2_b64 exec, exec, s[10:11]
	s_cbranch_execz .LBB18_166
.LBB18_159:                             ;   Parent Loop BB18_156 Depth=1
                                        ; =>  This Loop Header: Depth=2
                                        ;       Child Loop BB18_162 Depth 3
	s_and_saveexec_b64 s[12:13], s[2:3]
	s_cbranch_execz .LBB18_158
; %bb.160:                              ;   in Loop: Header=BB18_159 Depth=2
	s_mov_b64 s[14:15], 0
	v_mov_b32_e32 v13, v11
	v_mov_b32_e32 v14, v3
	s_branch .LBB18_162
.LBB18_161:                             ;   in Loop: Header=BB18_162 Depth=3
	v_ashrrev_i32_e32 v5, 31, v4
	v_lshlrev_b64 v[4:5], 3, v[4:5]
	v_mov_b32_e32 v15, s25
	v_add_co_u32_e32 v4, vcc, s24, v4
	v_addc_co_u32_e32 v5, vcc, v15, v5, vcc
	global_load_dwordx2 v[4:5], v[4:5], off
	v_add_u32_e32 v14, 2, v14
	v_cmp_le_i32_e32 vcc, s31, v14
	s_or_b64 s[14:15], vcc, s[14:15]
	s_waitcnt vmcnt(0)
	ds_write_b64 v13, v[4:5]
	v_add_u32_e32 v13, 0x210, v13
	s_andn2_b64 exec, exec, s[14:15]
	s_cbranch_execz .LBB18_158
.LBB18_162:                             ;   Parent Loop BB18_156 Depth=1
                                        ;     Parent Loop BB18_159 Depth=2
                                        ; =>    This Inner Loop Header: Depth=3
	s_and_b64 vcc, exec, s[8:9]
	s_cbranch_vccz .LBB18_164
; %bb.163:                              ;   in Loop: Header=BB18_162 Depth=3
	v_add_u32_e32 v4, s22, v14
	v_mad_u64_u32 v[4:5], s[16:17], v4, s31, v[2:3]
	s_cbranch_execnz .LBB18_161
	s_branch .LBB18_165
.LBB18_164:                             ;   in Loop: Header=BB18_162 Depth=3
                                        ; implicit-def: $vgpr4
.LBB18_165:                             ;   in Loop: Header=BB18_162 Depth=3
	v_add_u32_e32 v4, v12, v14
	s_branch .LBB18_161
.LBB18_166:                             ;   in Loop: Header=BB18_156 Depth=1
	s_or_b64 exec, exec, s[6:7]
	s_and_b64 vcc, exec, s[4:5]
	s_waitcnt lgkmcnt(0)
	s_cbranch_vccnz .LBB18_175
; %bb.167:                              ;   in Loop: Header=BB18_156 Depth=1
	s_mov_b32 s23, 0
	v_mov_b32_e32 v2, v10
	v_mov_b32_e32 v4, v9
	s_branch .LBB18_169
.LBB18_168:                             ;   in Loop: Header=BB18_169 Depth=2
	s_or_b64 exec, exec, s[10:11]
	s_add_i32 s23, s23, 1
	v_add_u32_e32 v4, 8, v4
	s_cmp_eq_u32 s23, s31
	v_add_u32_e32 v2, 0x110, v2
	s_cbranch_scc1 .LBB18_175
.LBB18_169:                             ;   Parent Loop BB18_156 Depth=1
                                        ; =>  This Loop Header: Depth=2
                                        ;       Child Loop BB18_172 Depth 3
                                        ;         Child Loop BB18_174 Depth 4
	s_and_saveexec_b64 s[10:11], s[0:1]
	s_cbranch_execz .LBB18_168
; %bb.170:                              ;   in Loop: Header=BB18_169 Depth=2
	v_add_u32_e32 v5, s23, v6
	s_lshl_b32 s26, s23, 3
	v_cmp_gt_i32_e32 vcc, s31, v5
	s_mov_b64 s[12:13], 0
	s_addk_i32 s26, 0x2100
	v_mov_b32_e32 v11, v4
	v_mov_b32_e32 v12, v1
	s_branch .LBB18_172
.LBB18_171:                             ;   in Loop: Header=BB18_172 Depth=3
	s_or_b64 exec, exec, s[14:15]
	v_add_u32_e32 v12, 32, v12
	v_cmp_le_i32_e64 s[6:7], s31, v12
	s_or_b64 s[12:13], s[6:7], s[12:13]
	v_add_u32_e32 v11, 0x2100, v11
	s_andn2_b64 exec, exec, s[12:13]
	s_cbranch_execz .LBB18_168
.LBB18_172:                             ;   Parent Loop BB18_156 Depth=1
                                        ;     Parent Loop BB18_169 Depth=2
                                        ; =>    This Loop Header: Depth=3
                                        ;         Child Loop BB18_174 Depth 4
	s_and_saveexec_b64 s[14:15], vcc
	s_cbranch_execz .LBB18_171
; %bb.173:                              ;   in Loop: Header=BB18_172 Depth=3
	v_mul_lo_u32 v13, v12, s21
	v_add_u32_e32 v13, s26, v13
	s_mov_b64 s[16:17], 0
	v_mov_b32_e32 v14, v2
	v_mov_b32_e32 v15, v11
	;; [unrolled: 1-line block ×3, first 2 shown]
.LBB18_174:                             ;   Parent Loop BB18_156 Depth=1
                                        ;     Parent Loop BB18_169 Depth=2
                                        ;       Parent Loop BB18_172 Depth=3
                                        ; =>      This Inner Loop Header: Depth=4
	ds_read_b64 v[18:19], v13
	ds_read_b64 v[20:21], v14
	;; [unrolled: 1-line block ×3, first 2 shown]
	v_add_u32_e32 v16, 2, v16
	v_cmp_le_i32_e64 s[6:7], s31, v16
	s_or_b64 s[16:17], s[6:7], s[16:17]
	v_add_u32_e32 v14, 16, v14
	s_waitcnt lgkmcnt(0)
	v_pk_fma_f32 v[22:23], v[20:21], v[18:19], v[22:23] op_sel_hi:[1,0,1] neg_lo:[1,0,0] neg_hi:[1,0,0]
	v_pk_fma_f32 v[18:19], v[20:21], v[18:19], v[22:23] op_sel:[1,1,0] op_sel_hi:[0,1,1] neg_hi:[1,0,0]
	ds_write_b64 v15, v[18:19]
	v_add_u32_e32 v15, 16, v15
	s_andn2_b64 exec, exec, s[16:17]
	s_cbranch_execnz .LBB18_174
	s_branch .LBB18_171
.LBB18_175:                             ;   in Loop: Header=BB18_156 Depth=1
	s_waitcnt lgkmcnt(0)
	s_and_saveexec_b64 s[6:7], s[0:1]
	s_cbranch_execz .LBB18_185
; %bb.176:                              ;   in Loop: Header=BB18_156 Depth=1
	s_mov_b64 s[10:11], 0
	v_mov_b32_e32 v11, v8
	v_mov_b32_e32 v12, v7
	;; [unrolled: 1-line block ×3, first 2 shown]
	s_branch .LBB18_178
.LBB18_177:                             ;   in Loop: Header=BB18_178 Depth=2
	s_or_b64 exec, exec, s[12:13]
	v_add_u32_e32 v2, 32, v2
	v_cmp_le_i32_e32 vcc, s31, v2
	v_add_u32_e32 v12, s20, v12
	s_or_b64 s[10:11], vcc, s[10:11]
	v_add_u32_e32 v11, 0x100, v11
	s_andn2_b64 exec, exec, s[10:11]
	s_cbranch_execz .LBB18_185
.LBB18_178:                             ;   Parent Loop BB18_156 Depth=1
                                        ; =>  This Loop Header: Depth=2
                                        ;       Child Loop BB18_181 Depth 3
	s_and_saveexec_b64 s[12:13], s[2:3]
	s_cbranch_execz .LBB18_177
; %bb.179:                              ;   in Loop: Header=BB18_178 Depth=2
	s_mov_b64 s[14:15], 0
	v_mov_b32_e32 v13, v11
	v_mov_b32_e32 v14, v3
	s_branch .LBB18_181
.LBB18_180:                             ;   in Loop: Header=BB18_181 Depth=3
	v_ashrrev_i32_e32 v5, 31, v4
	v_lshlrev_b64 v[4:5], 3, v[4:5]
	ds_read_b64 v[16:17], v13
	v_mov_b32_e32 v15, s25
	v_add_co_u32_e32 v4, vcc, s24, v4
	v_addc_co_u32_e32 v5, vcc, v15, v5, vcc
	v_add_u32_e32 v14, 2, v14
	v_cmp_le_i32_e32 vcc, s31, v14
	s_or_b64 s[14:15], vcc, s[14:15]
	v_add_u32_e32 v13, 0x210, v13
	s_waitcnt lgkmcnt(0)
	global_store_dwordx2 v[4:5], v[16:17], off
	s_andn2_b64 exec, exec, s[14:15]
	s_cbranch_execz .LBB18_177
.LBB18_181:                             ;   Parent Loop BB18_156 Depth=1
                                        ;     Parent Loop BB18_178 Depth=2
                                        ; =>    This Inner Loop Header: Depth=3
	s_and_b64 vcc, exec, s[8:9]
	s_cbranch_vccz .LBB18_183
; %bb.182:                              ;   in Loop: Header=BB18_181 Depth=3
	v_add_u32_e32 v4, s22, v14
	v_mad_u64_u32 v[4:5], s[16:17], v4, s31, v[2:3]
	s_cbranch_execnz .LBB18_180
	s_branch .LBB18_184
.LBB18_183:                             ;   in Loop: Header=BB18_181 Depth=3
                                        ; implicit-def: $vgpr4
.LBB18_184:                             ;   in Loop: Header=BB18_181 Depth=3
	v_add_u32_e32 v4, v12, v14
	s_branch .LBB18_180
.LBB18_185:                             ;   in Loop: Header=BB18_156 Depth=1
	s_or_b64 exec, exec, s[6:7]
; %bb.186:                              ;   in Loop: Header=BB18_156 Depth=1
	s_add_i32 s18, s18, 1
	s_cmp_ge_i32 s18, s33
	v_add_u32_e32 v7, s19, v7
	s_cbranch_scc0 .LBB18_156
.LBB18_187:
	v_and_b32_e32 v1, 0x3ff, v0
	v_bfe_u32 v0, v0, 10, 10
	v_or_b32_e32 v0, v1, v0
	v_cmp_eq_u32_e32 vcc, 0, v0
	s_and_saveexec_b64 s[0:1], vcc
	s_cbranch_execz .LBB18_191
; %bb.188:
	s_add_u32 s0, s28, s40
	s_addc_u32 s1, s29, s41
	v_mov_b32_e32 v0, 0
	v_mov_b32_e32 v1, 1
	s_andn2_b64 vcc, exec, s[42:43]
	s_waitcnt vmcnt(0)
	global_store_dword v0, v1, s[0:1]
	s_cbranch_vccnz .LBB18_191
; %bb.189:
	v_mbcnt_lo_u32_b32 v0, exec_lo, 0
	v_mbcnt_hi_u32_b32 v0, exec_hi, v0
	v_cmp_eq_u32_e32 vcc, 0, v0
	s_and_b64 exec, exec, vcc
	s_cbranch_execz .LBB18_191
; %bb.190:
	s_add_i32 s0, s30, s34
	v_mov_b32_e32 v0, 0
	v_mov_b32_e32 v1, s0
	global_atomic_smin v0, v1, s[38:39]
.LBB18_191:
	s_endpgm
	.section	.rodata,"a",@progbits
	.p2align	6, 0x0
	.amdhsa_kernel _ZN9rocsparseL12bsrilu0_9_32ILj64ELj64ELj32E21rocsparse_complex_numIfEEEv20rocsparse_direction_iPKiS5_PT2_S5_iPiS5_S8_21rocsparse_index_base_imNS_24const_host_device_scalarIfEENSA_IdEENSA_IS6_EEb
		.amdhsa_group_segment_fixed_size 16896
		.amdhsa_private_segment_fixed_size 0
		.amdhsa_kernarg_size 116
		.amdhsa_user_sgpr_count 6
		.amdhsa_user_sgpr_private_segment_buffer 1
		.amdhsa_user_sgpr_dispatch_ptr 0
		.amdhsa_user_sgpr_queue_ptr 0
		.amdhsa_user_sgpr_kernarg_segment_ptr 1
		.amdhsa_user_sgpr_dispatch_id 0
		.amdhsa_user_sgpr_flat_scratch_init 0
		.amdhsa_user_sgpr_kernarg_preload_length 0
		.amdhsa_user_sgpr_kernarg_preload_offset 0
		.amdhsa_user_sgpr_private_segment_size 0
		.amdhsa_uses_dynamic_stack 0
		.amdhsa_system_sgpr_private_segment_wavefront_offset 0
		.amdhsa_system_sgpr_workgroup_id_x 1
		.amdhsa_system_sgpr_workgroup_id_y 0
		.amdhsa_system_sgpr_workgroup_id_z 0
		.amdhsa_system_sgpr_workgroup_info 0
		.amdhsa_system_vgpr_workitem_id 1
		.amdhsa_next_free_vgpr 60
		.amdhsa_next_free_sgpr 81
		.amdhsa_accum_offset 60
		.amdhsa_reserve_vcc 1
		.amdhsa_reserve_flat_scratch 0
		.amdhsa_float_round_mode_32 0
		.amdhsa_float_round_mode_16_64 0
		.amdhsa_float_denorm_mode_32 3
		.amdhsa_float_denorm_mode_16_64 3
		.amdhsa_dx10_clamp 1
		.amdhsa_ieee_mode 1
		.amdhsa_fp16_overflow 0
		.amdhsa_tg_split 0
		.amdhsa_exception_fp_ieee_invalid_op 0
		.amdhsa_exception_fp_denorm_src 0
		.amdhsa_exception_fp_ieee_div_zero 0
		.amdhsa_exception_fp_ieee_overflow 0
		.amdhsa_exception_fp_ieee_underflow 0
		.amdhsa_exception_fp_ieee_inexact 0
		.amdhsa_exception_int_div_zero 0
	.end_amdhsa_kernel
	.section	.text._ZN9rocsparseL12bsrilu0_9_32ILj64ELj64ELj32E21rocsparse_complex_numIfEEEv20rocsparse_direction_iPKiS5_PT2_S5_iPiS5_S8_21rocsparse_index_base_imNS_24const_host_device_scalarIfEENSA_IdEENSA_IS6_EEb,"axG",@progbits,_ZN9rocsparseL12bsrilu0_9_32ILj64ELj64ELj32E21rocsparse_complex_numIfEEEv20rocsparse_direction_iPKiS5_PT2_S5_iPiS5_S8_21rocsparse_index_base_imNS_24const_host_device_scalarIfEENSA_IdEENSA_IS6_EEb,comdat
.Lfunc_end18:
	.size	_ZN9rocsparseL12bsrilu0_9_32ILj64ELj64ELj32E21rocsparse_complex_numIfEEEv20rocsparse_direction_iPKiS5_PT2_S5_iPiS5_S8_21rocsparse_index_base_imNS_24const_host_device_scalarIfEENSA_IdEENSA_IS6_EEb, .Lfunc_end18-_ZN9rocsparseL12bsrilu0_9_32ILj64ELj64ELj32E21rocsparse_complex_numIfEEEv20rocsparse_direction_iPKiS5_PT2_S5_iPiS5_S8_21rocsparse_index_base_imNS_24const_host_device_scalarIfEENSA_IdEENSA_IS6_EEb
                                        ; -- End function
	.section	.AMDGPU.csdata,"",@progbits
; Kernel info:
; codeLenInByte = 5816
; NumSgprs: 85
; NumVgprs: 60
; NumAgprs: 0
; TotalNumVgprs: 60
; ScratchSize: 0
; MemoryBound: 0
; FloatMode: 240
; IeeeMode: 1
; LDSByteSize: 16896 bytes/workgroup (compile time only)
; SGPRBlocks: 10
; VGPRBlocks: 7
; NumSGPRsForWavesPerEU: 85
; NumVGPRsForWavesPerEU: 60
; AccumOffset: 60
; Occupancy: 1
; WaveLimiterHint : 1
; COMPUTE_PGM_RSRC2:SCRATCH_EN: 0
; COMPUTE_PGM_RSRC2:USER_SGPR: 6
; COMPUTE_PGM_RSRC2:TRAP_HANDLER: 0
; COMPUTE_PGM_RSRC2:TGID_X_EN: 1
; COMPUTE_PGM_RSRC2:TGID_Y_EN: 0
; COMPUTE_PGM_RSRC2:TGID_Z_EN: 0
; COMPUTE_PGM_RSRC2:TIDIG_COMP_CNT: 1
; COMPUTE_PGM_RSRC3_GFX90A:ACCUM_OFFSET: 14
; COMPUTE_PGM_RSRC3_GFX90A:TG_SPLIT: 0
	.section	.text._ZN9rocsparseL13bsrilu0_33_64ILj64ELj64ELj64E21rocsparse_complex_numIfEEEv20rocsparse_direction_iPKiS5_PT2_S5_iPiS5_S8_21rocsparse_index_base_imNS_24const_host_device_scalarIfEENSA_IdEENSA_IS6_EEb,"axG",@progbits,_ZN9rocsparseL13bsrilu0_33_64ILj64ELj64ELj64E21rocsparse_complex_numIfEEEv20rocsparse_direction_iPKiS5_PT2_S5_iPiS5_S8_21rocsparse_index_base_imNS_24const_host_device_scalarIfEENSA_IdEENSA_IS6_EEb,comdat
	.globl	_ZN9rocsparseL13bsrilu0_33_64ILj64ELj64ELj64E21rocsparse_complex_numIfEEEv20rocsparse_direction_iPKiS5_PT2_S5_iPiS5_S8_21rocsparse_index_base_imNS_24const_host_device_scalarIfEENSA_IdEENSA_IS6_EEb ; -- Begin function _ZN9rocsparseL13bsrilu0_33_64ILj64ELj64ELj64E21rocsparse_complex_numIfEEEv20rocsparse_direction_iPKiS5_PT2_S5_iPiS5_S8_21rocsparse_index_base_imNS_24const_host_device_scalarIfEENSA_IdEENSA_IS6_EEb
	.p2align	8
	.type	_ZN9rocsparseL13bsrilu0_33_64ILj64ELj64ELj64E21rocsparse_complex_numIfEEEv20rocsparse_direction_iPKiS5_PT2_S5_iPiS5_S8_21rocsparse_index_base_imNS_24const_host_device_scalarIfEENSA_IdEENSA_IS6_EEb,@function
_ZN9rocsparseL13bsrilu0_33_64ILj64ELj64ELj64E21rocsparse_complex_numIfEEEv20rocsparse_direction_iPKiS5_PT2_S5_iPiS5_S8_21rocsparse_index_base_imNS_24const_host_device_scalarIfEENSA_IdEENSA_IS6_EEb: ; @_ZN9rocsparseL13bsrilu0_33_64ILj64ELj64ELj64E21rocsparse_complex_numIfEEEv20rocsparse_direction_iPKiS5_PT2_S5_iPiS5_S8_21rocsparse_index_base_imNS_24const_host_device_scalarIfEENSA_IdEENSA_IS6_EEb
; %bb.0:
	s_load_dword s0, s[4:5], 0x70
	s_load_dwordx2 s[34:35], s[4:5], 0x48
	s_load_dwordx8 s[24:31], s[4:5], 0x50
	s_waitcnt lgkmcnt(0)
	s_bitcmp1_b32 s0, 0
	s_cselect_b64 s[2:3], -1, 0
	s_cmp_lg_u32 s35, 0
	s_cselect_b64 s[8:9], -1, 0
	s_cmp_eq_u32 s35, 0
	s_cselect_b64 s[12:13], -1, 0
	s_and_b64 s[0:1], s[12:13], exec
	s_cselect_b32 s10, 0, s28
	s_cselect_b32 s11, 0, s29
	s_or_b64 s[14:15], s[12:13], s[2:3]
	s_xor_b64 s[0:1], s[14:15], -1
	s_and_b64 vcc, exec, s[14:15]
	s_cbranch_vccnz .LBB19_2
; %bb.1:
	s_load_dword s7, s[26:27], 0x0
	s_mov_b64 s[10:11], s[28:29]
	s_waitcnt lgkmcnt(0)
	v_mov_b32_e32 v1, s7
	s_andn2_b64 vcc, exec, s[0:1]
	v_pk_mov_b32 v[2:3], s[10:11], s[10:11] op_sel:[0,1]
	s_cbranch_vccz .LBB19_3
	s_branch .LBB19_4
.LBB19_2:
	v_mov_b32_e32 v1, s26
	v_cndmask_b32_e64 v1, v1, 0, s[12:13]
	s_andn2_b64 vcc, exec, s[0:1]
	v_pk_mov_b32 v[2:3], s[10:11], s[10:11] op_sel:[0,1]
	s_cbranch_vccnz .LBB19_4
.LBB19_3:
	v_pk_mov_b32 v[2:3], s[28:29], s[28:29] op_sel:[0,1]
	flat_load_dwordx2 v[2:3], v[2:3]
.LBB19_4:
	v_cndmask_b32_e64 v4, 0, 1, s[8:9]
	s_mov_b32 s58, 0
	v_cmp_ne_u32_e64 s[0:1], 1, v4
	s_andn2_b64 vcc, exec, s[8:9]
	s_mov_b32 s35, 0
	s_cbranch_vccnz .LBB19_10
; %bb.5:
	s_xor_b64 s[8:9], s[2:3], -1
	v_cndmask_b32_e64 v4, 0, 1, s[8:9]
	v_cmp_ne_u32_e64 s[2:3], 1, v4
	s_andn2_b64 vcc, exec, s[8:9]
	s_mov_b32 s35, s30
	s_cbranch_vccnz .LBB19_7
; %bb.6:
	s_load_dword s35, s[30:31], 0x0
.LBB19_7:
	s_and_b64 vcc, exec, s[2:3]
	s_cbranch_vccnz .LBB19_9
; %bb.8:
	s_load_dword s31, s[30:31], 0x4
.LBB19_9:
	s_waitcnt lgkmcnt(0)
	s_mov_b32 s58, s31
.LBB19_10:
	s_load_dwordx4 s[28:31], s[4:5], 0x30
	s_load_dwordx2 s[26:27], s[4:5], 0x40
	s_mov_b32 s7, 0
	s_lshl_b64 s[2:3], s[6:7], 2
	s_waitcnt lgkmcnt(0)
	s_add_u32 s2, s30, s2
	s_addc_u32 s3, s31, s3
	s_load_dword s30, s[2:3], 0x0
	s_load_dwordx8 s[16:23], s[4:5], 0x8
	s_waitcnt lgkmcnt(0)
	s_ashr_i32 s31, s30, 31
	s_lshl_b64 s[36:37], s[30:31], 2
	s_add_u32 s2, s22, s36
	s_addc_u32 s3, s23, s37
	s_load_dword s40, s[2:3], 0x0
	s_waitcnt lgkmcnt(0)
	s_cmp_eq_u32 s40, -1
	s_cbranch_scc1 .LBB19_103
; %bb.11:
	s_add_u32 s2, s16, s36
	s_addc_u32 s3, s17, s37
	s_load_dwordx2 s[6:7], s[2:3], 0x0
	s_load_dwordx2 s[42:43], s[4:5], 0x0
	s_load_dword s31, s[4:5], 0x28
	s_mov_b64 s[38:39], 0
	s_waitcnt lgkmcnt(0)
	s_sub_i32 s44, s6, s34
	s_sub_i32 s33, s7, s34
	s_cmp_ge_i32 s44, s40
	s_cbranch_scc1 .LBB19_92
; %bb.12:
	v_and_b32_e32 v15, 0x3ff, v0
	v_bfe_u32 v26, v0, 10, 10
	s_cmp_lg_u32 s42, 0
	s_cselect_b64 s[46:47], -1, 0
	s_cmp_gt_i32 s31, 0
	v_lshl_or_b32 v4, v26, 6, v15
	s_cselect_b64 s[12:13], -1, 0
	v_add_u32_e32 v4, s44, v4
	s_add_i32 s41, s43, 1
	s_movk_i32 s14, 0x208
	v_lshlrev_b32_e32 v8, 3, v15
	s_mul_i32 s15, s31, s44
	v_ashrrev_i32_e32 v5, 31, v4
	s_add_u32 s43, s16, 4
	v_mad_u32_u24 v28, v26, s14, v8
	v_add_u32_e32 v8, s15, v15
	v_lshlrev_b64 v[6:7], 2, v[4:5]
	s_addc_u32 s59, s17, 0
	v_mul_lo_u32 v29, s31, v8
	v_cndmask_b32_e64 v8, 0, 1, s[12:13]
	v_add_u32_e32 v27, 1, v26
	v_mov_b32_e32 v5, s19
	v_add_co_u32_e32 v6, vcc, s18, v6
	s_add_u32 s60, s18, 0x100
	v_cmp_ne_u32_e64 s[12:13], 1, v8
	v_mbcnt_lo_u32_b32 v8, -1, 0
	v_cmp_gt_i32_e64 s[2:3], s31, v15
	v_cmp_le_i32_e64 s[4:5], s31, v15
	v_cmp_gt_i32_e64 s[6:7], s31, v26
	v_cmp_eq_u32_e64 s[8:9], 0, v26
	v_cmp_gt_i32_e64 s[10:11], s33, v4
	v_addc_co_u32_e32 v7, vcc, v5, v7, vcc
	s_addc_u32 s61, s19, 0
	s_lshl_b32 s62, s31, 6
	v_mul_u32_u24_e32 v5, 0x208, v26
	v_add_u32_e32 v30, v27, v29
	s_mul_i32 s63, s31, s31
	v_mad_u32_u24 v31, v26, s14, s14
	v_mov_b32_e32 v32, 0
	v_cndmask_b32_e64 v33, 0, 1, s[46:47]
	v_mbcnt_hi_u32_b32 v34, -1, v8
	s_branch .LBB19_15
.LBB19_13:                              ;   in Loop: Header=BB19_15 Depth=1
	s_mov_b64 s[38:39], -1
.LBB19_14:                              ;   in Loop: Header=BB19_15 Depth=1
	s_add_i32 s44, s44, 1
	s_cmp_lt_i32 s44, s40
	s_cselect_b64 s[14:15], -1, 0
	s_and_b64 s[14:15], s[48:49], s[14:15]
	v_add_u32_e32 v30, s63, v30
	v_add_u32_e32 v29, s63, v29
	s_and_b64 vcc, exec, s[14:15]
	s_cbranch_vccz .LBB19_92
.LBB19_15:                              ; =>This Loop Header: Depth=1
                                        ;     Child Loop BB19_17 Depth 2
                                        ;     Child Loop BB19_21 Depth 2
                                        ;       Child Loop BB19_24 Depth 3
                                        ;     Child Loop BB19_31 Depth 2
                                        ;       Child Loop BB19_34 Depth 3
                                        ;         Child Loop BB19_45 Depth 4
                                        ;     Child Loop BB19_56 Depth 2
                                        ;       Child Loop BB19_61 Depth 3
                                        ;       Child Loop BB19_70 Depth 3
                                        ;         Child Loop BB19_73 Depth 4
                                        ;       Child Loop BB19_79 Depth 3
                                        ;         Child Loop BB19_82 Depth 4
                                        ;           Child Loop BB19_84 Depth 5
	s_ashr_i32 s45, s44, 31
	s_lshl_b64 s[14:15], s[44:45], 2
	s_add_u32 s14, s18, s14
	s_addc_u32 s15, s19, s15
	global_load_dword v8, v32, s[14:15]
	s_waitcnt vmcnt(0)
	v_readfirstlane_b32 s14, v8
	s_sub_i32 s14, s14, s34
	s_ashr_i32 s15, s14, 31
	s_lshl_b64 s[14:15], s[14:15], 2
	s_add_u32 s16, s22, s14
	s_addc_u32 s17, s23, s15
	global_load_dword v8, v32, s[16:17]
	s_waitcnt vmcnt(0)
	v_readfirstlane_b32 s65, v8
	v_cmp_eq_u32_e32 vcc, -1, v8
	s_cmp_lg_u32 s65, -1
	s_cselect_b64 s[48:49], -1, 0
	s_cbranch_vccnz .LBB19_13
; %bb.16:                               ;   in Loop: Header=BB19_15 Depth=1
	s_add_u32 s16, s43, s14
	s_addc_u32 s17, s59, s15
	global_load_dword v8, v32, s[16:17]
	s_add_u32 s14, s28, s14
	s_addc_u32 s15, s29, s15
	s_waitcnt vmcnt(0)
	v_readfirstlane_b32 s64, v8
.LBB19_17:                              ;   Parent Loop BB19_15 Depth=1
                                        ; =>  This Inner Loop Header: Depth=2
	global_load_dword v8, v32, s[14:15] glc
	s_waitcnt vmcnt(0)
	v_cmp_eq_u32_e32 vcc, 0, v8
	s_cbranch_vccnz .LBB19_17
; %bb.18:                               ;   in Loop: Header=BB19_15 Depth=1
	buffer_wbinvl1_vol
	s_and_saveexec_b64 s[14:15], s[2:3]
	s_cbranch_execz .LBB19_28
; %bb.19:                               ;   in Loop: Header=BB19_15 Depth=1
	s_mul_i32 s45, s65, s31
	v_add_u32_e32 v8, s45, v15
	s_waitcnt lgkmcnt(0)
	v_mul_lo_u32 v9, s31, v8
	s_mov_b64 s[16:17], 0
	v_mov_b32_e32 v12, v28
	v_mov_b32_e32 v8, v15
	s_branch .LBB19_21
.LBB19_20:                              ;   in Loop: Header=BB19_21 Depth=2
	s_or_b64 exec, exec, s[50:51]
	v_add_u32_e32 v8, 64, v8
	v_cmp_le_i32_e32 vcc, s31, v8
	v_add_u32_e32 v9, s62, v9
	s_or_b64 s[16:17], vcc, s[16:17]
	v_add_u32_e32 v12, 0x200, v12
	s_andn2_b64 exec, exec, s[16:17]
	s_cbranch_execz .LBB19_28
.LBB19_21:                              ;   Parent Loop BB19_15 Depth=1
                                        ; =>  This Loop Header: Depth=2
                                        ;       Child Loop BB19_24 Depth 3
	s_and_saveexec_b64 s[50:51], s[6:7]
	s_cbranch_execz .LBB19_20
; %bb.22:                               ;   in Loop: Header=BB19_21 Depth=2
	s_mov_b64 s[52:53], 0
	v_mov_b32_e32 v13, v12
	v_mov_b32_e32 v14, v26
	s_branch .LBB19_24
.LBB19_23:                              ;   in Loop: Header=BB19_24 Depth=3
	v_ashrrev_i32_e32 v11, 31, v10
	v_lshlrev_b64 v[10:11], 3, v[10:11]
	v_mov_b32_e32 v16, s21
	v_add_co_u32_e32 v10, vcc, s20, v10
	v_addc_co_u32_e32 v11, vcc, v16, v11, vcc
	global_load_dwordx2 v[10:11], v[10:11], off
	v_add_u32_e32 v14, 1, v14
	v_cmp_le_i32_e32 vcc, s31, v14
	s_or_b64 s[52:53], vcc, s[52:53]
	s_waitcnt vmcnt(0)
	ds_write_b64 v13, v[10:11]
	v_add_u32_e32 v13, 0x208, v13
	s_andn2_b64 exec, exec, s[52:53]
	s_cbranch_execz .LBB19_20
.LBB19_24:                              ;   Parent Loop BB19_15 Depth=1
                                        ;     Parent Loop BB19_21 Depth=2
                                        ; =>    This Inner Loop Header: Depth=3
	s_and_b64 vcc, exec, s[46:47]
	s_cbranch_vccz .LBB19_26
; %bb.25:                               ;   in Loop: Header=BB19_24 Depth=3
	v_add_u32_e32 v10, s45, v14
	v_mad_u64_u32 v[10:11], s[54:55], v10, s31, v[8:9]
	s_cbranch_execnz .LBB19_23
	s_branch .LBB19_27
.LBB19_26:                              ;   in Loop: Header=BB19_24 Depth=3
                                        ; implicit-def: $vgpr10
.LBB19_27:                              ;   in Loop: Header=BB19_24 Depth=3
	v_add_u32_e32 v10, v9, v14
	s_branch .LBB19_23
.LBB19_28:                              ;   in Loop: Header=BB19_15 Depth=1
	s_or_b64 exec, exec, s[14:15]
	s_and_b64 vcc, exec, s[12:13]
	s_mul_i32 s45, s44, s31
	s_waitcnt lgkmcnt(0)
	s_cbranch_vccnz .LBB19_51
; %bb.29:                               ;   in Loop: Header=BB19_15 Depth=1
	s_mov_b32 s66, 0
	v_mov_b32_e32 v35, v31
	v_mov_b32_e32 v36, v30
	s_branch .LBB19_31
.LBB19_30:                              ;   in Loop: Header=BB19_31 Depth=2
	s_or_b64 exec, exec, s[50:51]
	s_add_i32 s66, s66, 1
	v_add_u32_e32 v36, 1, v36
	s_cmp_eq_u32 s66, s31
	v_add_u32_e32 v35, 0x210, v35
	s_cbranch_scc1 .LBB19_51
.LBB19_31:                              ;   Parent Loop BB19_15 Depth=1
                                        ; =>  This Loop Header: Depth=2
                                        ;       Child Loop BB19_34 Depth 3
                                        ;         Child Loop BB19_45 Depth 4
	s_and_saveexec_b64 s[50:51], s[2:3]
	s_cbranch_execz .LBB19_30
; %bb.32:                               ;   in Loop: Header=BB19_31 Depth=2
	s_lshl_b32 s14, s66, 3
	s_mul_i32 s15, s66, 0x208
	s_add_i32 s14, s15, s14
	v_mov_b32_e32 v8, s14
	ds_read_b64 v[8:9], v8
	s_add_i32 s67, s66, s45
	v_add_u32_e32 v37, s66, v27
	s_mul_i32 s67, s67, s31
	s_mov_b64 s[52:53], 0
	s_waitcnt lgkmcnt(0)
	v_mul_f32_e32 v10, v9, v9
	v_fmac_f32_e32 v10, v8, v8
	v_div_scale_f32 v11, s[14:15], v10, v10, 1.0
	v_rcp_f32_e32 v12, v11
	v_div_scale_f32 v13, vcc, 1.0, v10, 1.0
	v_cmp_gt_i32_e64 s[14:15], s31, v37
	v_fma_f32 v14, -v11, v12, 1.0
	v_fmac_f32_e32 v12, v14, v12
	v_mul_f32_e32 v14, v13, v12
	v_fma_f32 v16, -v11, v14, v13
	v_fmac_f32_e32 v14, v16, v12
	v_fma_f32 v11, -v11, v14, v13
	v_div_fmas_f32 v11, v11, v12, v14
	v_div_fixup_f32 v10, v11, v10, 1.0
	v_mov_b32_e32 v11, v10
	v_mov_b32_e32 v12, v8
	v_mov_b32_e32 v13, v8
	v_mov_b32_e32 v8, v9
	v_mov_b32_e32 v38, v36
	v_mov_b32_e32 v14, v15
	s_branch .LBB19_34
.LBB19_33:                              ;   in Loop: Header=BB19_34 Depth=3
	s_or_b64 exec, exec, s[54:55]
	v_add_u32_e32 v14, 64, v14
	v_cmp_le_i32_e32 vcc, s31, v14
	s_or_b64 s[52:53], vcc, s[52:53]
	v_add_u32_e32 v38, s62, v38
	s_andn2_b64 exec, exec, s[52:53]
	s_cbranch_execz .LBB19_30
.LBB19_34:                              ;   Parent Loop BB19_15 Depth=1
                                        ;     Parent Loop BB19_31 Depth=2
                                        ; =>    This Loop Header: Depth=3
                                        ;         Child Loop BB19_45 Depth 4
	s_and_b64 vcc, exec, s[46:47]
	s_cbranch_vccz .LBB19_49
; %bb.35:                               ;   in Loop: Header=BB19_34 Depth=3
	v_add_u32_e32 v16, s67, v14
	s_cbranch_execnz .LBB19_37
.LBB19_36:                              ;   in Loop: Header=BB19_34 Depth=3
	v_add_u32_e32 v16, s45, v14
	v_mul_lo_u32 v16, v16, s31
	v_add_u32_e32 v16, s66, v16
.LBB19_37:                              ;   in Loop: Header=BB19_34 Depth=3
	v_ashrrev_i32_e32 v17, 31, v16
	v_lshlrev_b64 v[16:17], 3, v[16:17]
	v_mov_b32_e32 v18, s21
	v_add_co_u32_e32 v16, vcc, s20, v16
	v_addc_co_u32_e32 v17, vcc, v18, v17, vcc
	global_load_dwordx2 v[16:17], v[16:17], off
	s_waitcnt vmcnt(0)
	v_pk_mul_f32 v[18:19], v[8:9], v[16:17] op_sel:[0,1] op_sel_hi:[1,0] neg_hi:[0,1]
	v_pk_fma_f32 v[16:17], v[16:17], v[12:13], v[18:19]
	v_pk_mul_f32 v[16:17], v[10:11], v[16:17]
	s_and_saveexec_b64 s[16:17], s[8:9]
	s_cbranch_execz .LBB19_42
; %bb.38:                               ;   in Loop: Header=BB19_34 Depth=3
	s_and_b64 vcc, exec, s[46:47]
	s_cbranch_vccz .LBB19_50
; %bb.39:                               ;   in Loop: Header=BB19_34 Depth=3
	v_add_u32_e32 v18, s67, v14
	s_cbranch_execnz .LBB19_41
.LBB19_40:                              ;   in Loop: Header=BB19_34 Depth=3
	v_add_u32_e32 v18, s45, v14
	v_mul_lo_u32 v18, v18, s31
	v_add_u32_e32 v18, s66, v18
.LBB19_41:                              ;   in Loop: Header=BB19_34 Depth=3
	v_ashrrev_i32_e32 v19, 31, v18
	v_lshlrev_b64 v[18:19], 3, v[18:19]
	v_mov_b32_e32 v20, s21
	v_add_co_u32_e32 v18, vcc, s20, v18
	v_addc_co_u32_e32 v19, vcc, v20, v19, vcc
	global_store_dwordx2 v[18:19], v[16:17], off
.LBB19_42:                              ;   in Loop: Header=BB19_34 Depth=3
	s_or_b64 exec, exec, s[16:17]
	s_and_saveexec_b64 s[54:55], s[14:15]
	s_cbranch_execz .LBB19_33
; %bb.43:                               ;   in Loop: Header=BB19_34 Depth=3
	v_xor_b32_e32 v19, 0x80000000, v16
	v_mov_b32_e32 v18, v17
	s_mov_b64 s[56:57], 0
	v_mov_b32_e32 v39, v35
	v_mov_b32_e32 v40, v38
	;; [unrolled: 1-line block ×3, first 2 shown]
	s_branch .LBB19_45
.LBB19_44:                              ;   in Loop: Header=BB19_45 Depth=4
	v_ashrrev_i32_e32 v23, 31, v22
	s_waitcnt vmcnt(0) lgkmcnt(0)
	v_pk_fma_f32 v[24:25], v[16:17], v[20:21], v[24:25] op_sel_hi:[1,0,1] neg_lo:[1,0,0] neg_hi:[1,0,0]
	v_lshlrev_b64 v[22:23], 3, v[22:23]
	v_pk_fma_f32 v[20:21], v[18:19], v[20:21], v[24:25] op_sel:[0,1,0]
	v_mov_b32_e32 v24, s21
	v_add_co_u32_e32 v22, vcc, s20, v22
	v_addc_co_u32_e32 v23, vcc, v24, v23, vcc
	v_add_u32_e32 v41, 1, v41
	v_cmp_le_i32_e32 vcc, s31, v41
	v_add_u32_e32 v40, 1, v40
	s_or_b64 s[56:57], vcc, s[56:57]
	v_add_u32_e32 v39, 0x208, v39
	global_store_dwordx2 v[22:23], v[20:21], off
	s_andn2_b64 exec, exec, s[56:57]
	s_cbranch_execz .LBB19_33
.LBB19_45:                              ;   Parent Loop BB19_15 Depth=1
                                        ;     Parent Loop BB19_31 Depth=2
                                        ;       Parent Loop BB19_34 Depth=3
                                        ; =>      This Inner Loop Header: Depth=4
	ds_read_b64 v[20:21], v39
	v_cmp_ne_u32_e64 s[16:17], 1, v33
	s_andn2_b64 vcc, exec, s[46:47]
	v_add_u32_e32 v42, s45, v41
	v_mov_b32_e32 v22, v40
	s_cbranch_vccnz .LBB19_47
; %bb.46:                               ;   in Loop: Header=BB19_45 Depth=4
	v_mad_u64_u32 v[22:23], s[68:69], v42, s31, v[14:15]
.LBB19_47:                              ;   in Loop: Header=BB19_45 Depth=4
	v_ashrrev_i32_e32 v23, 31, v22
	v_lshlrev_b64 v[22:23], 3, v[22:23]
	v_mov_b32_e32 v24, s21
	v_add_co_u32_e32 v22, vcc, s20, v22
	v_addc_co_u32_e32 v23, vcc, v24, v23, vcc
	global_load_dwordx2 v[24:25], v[22:23], off
	s_and_b64 vcc, exec, s[16:17]
	v_mov_b32_e32 v22, v40
	s_cbranch_vccnz .LBB19_44
; %bb.48:                               ;   in Loop: Header=BB19_45 Depth=4
	v_mad_u64_u32 v[22:23], s[16:17], v42, s31, v[14:15]
	s_branch .LBB19_44
.LBB19_49:                              ;   in Loop: Header=BB19_34 Depth=3
                                        ; implicit-def: $vgpr16
	s_branch .LBB19_36
.LBB19_50:                              ;   in Loop: Header=BB19_34 Depth=3
                                        ; implicit-def: $vgpr18
	s_branch .LBB19_40
.LBB19_51:                              ;   in Loop: Header=BB19_15 Depth=1
	s_sub_i32 s64, s64, s34
	s_add_i32 s14, s65, 1
	s_cmp_ge_i32 s14, s64
	s_cbranch_scc1 .LBB19_14
; %bb.52:                               ;   in Loop: Header=BB19_15 Depth=1
	s_mul_i32 s15, s31, s14
	v_add_u32_e32 v8, s15, v15
	v_mul_lo_u32 v14, s31, v8
	s_branch .LBB19_56
.LBB19_53:                              ;   in Loop: Header=BB19_56 Depth=2
	s_or_b64 exec, exec, s[50:51]
.LBB19_54:                              ;   in Loop: Header=BB19_56 Depth=2
	s_or_b64 exec, exec, s[16:17]
.LBB19_55:                              ;   in Loop: Header=BB19_56 Depth=2
	s_add_i32 s14, s14, 1
	s_cmp_lt_i32 s14, s64
	v_add_u32_e32 v14, s63, v14
	s_cbranch_scc0 .LBB19_14
.LBB19_56:                              ;   Parent Loop BB19_15 Depth=1
                                        ; =>  This Loop Header: Depth=2
                                        ;       Child Loop BB19_61 Depth 3
                                        ;       Child Loop BB19_70 Depth 3
                                        ;         Child Loop BB19_73 Depth 4
                                        ;       Child Loop BB19_79 Depth 3
                                        ;         Child Loop BB19_82 Depth 4
                                        ;           Child Loop BB19_84 Depth 5
	s_ashr_i32 s15, s14, 31
	s_lshl_b64 s[16:17], s[14:15], 2
	s_add_u32 s16, s18, s16
	s_addc_u32 s17, s19, s17
	global_load_dword v8, v32, s[16:17]
	s_waitcnt lgkmcnt(0)
	v_mov_b32_e32 v9, s41
	s_and_saveexec_b64 s[16:17], s[10:11]
	s_cbranch_execz .LBB19_58
; %bb.57:                               ;   in Loop: Header=BB19_56 Depth=2
	global_load_dword v9, v[6:7], off
	s_waitcnt vmcnt(0)
	v_subrev_u32_e32 v9, s34, v9
.LBB19_58:                              ;   in Loop: Header=BB19_56 Depth=2
	s_or_b64 exec, exec, s[16:17]
	s_waitcnt vmcnt(0)
	v_subrev_u32_e32 v10, s34, v8
	v_cmp_lt_i32_e32 vcc, v9, v10
	v_mov_b32_e32 v11, v4
	s_and_saveexec_b64 s[16:17], vcc
	s_cbranch_execz .LBB19_64
; %bb.59:                               ;   in Loop: Header=BB19_56 Depth=2
	s_mov_b64 s[50:51], 0
	v_mov_b32_e32 v8, v4
	s_branch .LBB19_61
.LBB19_60:                              ;   in Loop: Header=BB19_61 Depth=3
	s_or_b64 exec, exec, s[52:53]
	v_cmp_ge_i32_e32 vcc, v9, v10
	s_or_b64 s[50:51], vcc, s[50:51]
	v_mov_b32_e32 v8, v11
	s_andn2_b64 exec, exec, s[50:51]
	s_cbranch_execz .LBB19_63
.LBB19_61:                              ;   Parent Loop BB19_15 Depth=1
                                        ;     Parent Loop BB19_56 Depth=2
                                        ; =>    This Inner Loop Header: Depth=3
	v_add_u32_e32 v11, 64, v8
	v_cmp_gt_i32_e32 vcc, s33, v11
	v_mov_b32_e32 v9, s41
	s_and_saveexec_b64 s[52:53], vcc
	s_cbranch_execz .LBB19_60
; %bb.62:                               ;   in Loop: Header=BB19_61 Depth=3
	v_ashrrev_i32_e32 v9, 31, v8
	v_lshlrev_b64 v[8:9], 2, v[8:9]
	v_mov_b32_e32 v12, s61
	v_add_co_u32_e32 v8, vcc, s60, v8
	v_addc_co_u32_e32 v9, vcc, v12, v9, vcc
	global_load_dword v8, v[8:9], off
	s_waitcnt vmcnt(0)
	v_subrev_u32_e32 v9, s34, v8
	s_branch .LBB19_60
.LBB19_63:                              ;   in Loop: Header=BB19_56 Depth=2
	s_or_b64 exec, exec, s[50:51]
.LBB19_64:                              ;   in Loop: Header=BB19_56 Depth=2
	s_or_b64 exec, exec, s[16:17]
	v_cmp_eq_u32_e32 vcc, v9, v10
	s_cbranch_vccz .LBB19_55
; %bb.65:                               ;   in Loop: Header=BB19_56 Depth=2
	s_ff1_i32_b64 s15, vcc
	v_and_or_b32 v8, v34, 64, s15
	v_lshlrev_b32_e32 v8, 2, v8
	ds_bpermute_b32 v9, v8, v11
	s_and_saveexec_b64 s[16:17], s[4:5]
	s_xor_b64 s[16:17], exec, s[16:17]
	s_cbranch_execz .LBB19_67
; %bb.66:                               ;   in Loop: Header=BB19_56 Depth=2
	s_waitcnt lgkmcnt(0)
                                        ; implicit-def: $vgpr9
.LBB19_67:                              ;   in Loop: Header=BB19_56 Depth=2
	s_andn2_saveexec_b64 s[16:17], s[16:17]
	s_cbranch_execz .LBB19_54
; %bb.68:                               ;   in Loop: Header=BB19_56 Depth=2
	s_mul_i32 s15, s14, s31
	s_mov_b64 s[50:51], 0
	v_mov_b32_e32 v12, v28
	v_mov_b32_e32 v13, v14
	;; [unrolled: 1-line block ×3, first 2 shown]
	s_branch .LBB19_70
.LBB19_69:                              ;   in Loop: Header=BB19_70 Depth=3
	s_or_b64 exec, exec, s[52:53]
	v_add_u32_e32 v8, 64, v8
	v_cmp_le_i32_e32 vcc, s31, v8
	v_add_u32_e32 v13, s62, v13
	s_or_b64 s[50:51], vcc, s[50:51]
	v_add_u32_e32 v12, 0x200, v12
	s_andn2_b64 exec, exec, s[50:51]
	s_cbranch_execz .LBB19_77
.LBB19_70:                              ;   Parent Loop BB19_15 Depth=1
                                        ;     Parent Loop BB19_56 Depth=2
                                        ; =>    This Loop Header: Depth=3
                                        ;         Child Loop BB19_73 Depth 4
	s_and_saveexec_b64 s[52:53], s[6:7]
	s_cbranch_execz .LBB19_69
; %bb.71:                               ;   in Loop: Header=BB19_70 Depth=3
	s_mov_b64 s[54:55], 0
	v_mov_b32_e32 v16, v12
	v_mov_b32_e32 v17, v26
	s_branch .LBB19_73
.LBB19_72:                              ;   in Loop: Header=BB19_73 Depth=4
	v_ashrrev_i32_e32 v11, 31, v10
	v_lshlrev_b64 v[10:11], 3, v[10:11]
	v_mov_b32_e32 v18, s21
	v_add_co_u32_e32 v10, vcc, s20, v10
	v_addc_co_u32_e32 v11, vcc, v18, v11, vcc
	global_load_dwordx2 v[10:11], v[10:11], off
	v_add_u32_e32 v17, 1, v17
	v_cmp_le_i32_e32 vcc, s31, v17
	s_or_b64 s[54:55], vcc, s[54:55]
	s_waitcnt vmcnt(0)
	ds_write_b64 v16, v[10:11]
	v_add_u32_e32 v16, 0x208, v16
	s_andn2_b64 exec, exec, s[54:55]
	s_cbranch_execz .LBB19_69
.LBB19_73:                              ;   Parent Loop BB19_15 Depth=1
                                        ;     Parent Loop BB19_56 Depth=2
                                        ;       Parent Loop BB19_70 Depth=3
                                        ; =>      This Inner Loop Header: Depth=4
	s_and_b64 vcc, exec, s[46:47]
	s_cbranch_vccz .LBB19_75
; %bb.74:                               ;   in Loop: Header=BB19_73 Depth=4
	v_add_u32_e32 v10, s15, v17
	s_waitcnt lgkmcnt(0)
	v_mad_u64_u32 v[10:11], s[56:57], v10, s31, v[8:9]
	s_cbranch_execnz .LBB19_72
	s_branch .LBB19_76
.LBB19_75:                              ;   in Loop: Header=BB19_73 Depth=4
                                        ; implicit-def: $vgpr10
.LBB19_76:                              ;   in Loop: Header=BB19_73 Depth=4
	v_add_u32_e32 v10, v13, v17
	s_branch .LBB19_72
.LBB19_77:                              ;   in Loop: Header=BB19_56 Depth=2
	s_or_b64 exec, exec, s[50:51]
	s_waitcnt lgkmcnt(0)
	v_mul_lo_u32 v9, v9, s31
	s_mov_b64 s[50:51], 0
	v_mov_b32_e32 v16, v29
	v_mov_b32_e32 v8, v15
	s_branch .LBB19_79
.LBB19_78:                              ;   in Loop: Header=BB19_79 Depth=3
	s_or_b64 exec, exec, s[52:53]
	v_add_u32_e32 v8, 64, v8
	v_cmp_le_i32_e32 vcc, s31, v8
	s_or_b64 s[50:51], vcc, s[50:51]
	v_add_u32_e32 v16, s62, v16
	s_andn2_b64 exec, exec, s[50:51]
	s_cbranch_execz .LBB19_53
.LBB19_79:                              ;   Parent Loop BB19_15 Depth=1
                                        ;     Parent Loop BB19_56 Depth=2
                                        ; =>    This Loop Header: Depth=3
                                        ;         Child Loop BB19_82 Depth 4
                                        ;           Child Loop BB19_84 Depth 5
	s_and_saveexec_b64 s[52:53], s[6:7]
	s_cbranch_execz .LBB19_78
; %bb.80:                               ;   in Loop: Header=BB19_79 Depth=3
	v_add_u32_e32 v10, v8, v9
	v_mul_lo_u32 v17, v10, s31
	s_mov_b64 s[54:55], 0
	v_mov_b32_e32 v18, v5
	v_mov_b32_e32 v19, v26
	s_branch .LBB19_82
.LBB19_81:                              ;   in Loop: Header=BB19_82 Depth=4
	v_ashrrev_i32_e32 v13, 31, v12
	v_lshlrev_b64 v[12:13], 3, v[12:13]
	v_mov_b32_e32 v20, s21
	v_add_co_u32_e32 v12, vcc, s20, v12
	v_addc_co_u32_e32 v13, vcc, v20, v13, vcc
	global_load_dwordx2 v[20:21], v[12:13], off
	v_add_u32_e32 v19, 1, v19
	v_cmp_le_i32_e32 vcc, s31, v19
	s_or_b64 s[54:55], vcc, s[54:55]
	v_add_u32_e32 v18, 0x208, v18
	s_waitcnt vmcnt(0)
	v_pk_add_f32 v[10:11], v[20:21], v[10:11] neg_lo:[0,1] neg_hi:[0,1]
	global_store_dwordx2 v[12:13], v[10:11], off
	s_andn2_b64 exec, exec, s[54:55]
	s_cbranch_execz .LBB19_78
.LBB19_82:                              ;   Parent Loop BB19_15 Depth=1
                                        ;     Parent Loop BB19_56 Depth=2
                                        ;       Parent Loop BB19_79 Depth=3
                                        ; =>      This Loop Header: Depth=4
                                        ;           Child Loop BB19_84 Depth 5
	v_mov_b32_e32 v10, 0
	s_mov_b32 s15, 0
	v_mov_b32_e32 v20, v18
	v_mov_b32_e32 v11, v10
	s_branch .LBB19_84
.LBB19_83:                              ;   in Loop: Header=BB19_84 Depth=5
	v_ashrrev_i32_e32 v13, 31, v12
	v_lshlrev_b64 v[12:13], 3, v[12:13]
	v_mov_b32_e32 v21, s21
	v_add_co_u32_e32 v12, vcc, s20, v12
	v_addc_co_u32_e32 v13, vcc, v21, v13, vcc
	global_load_dwordx2 v[12:13], v[12:13], off
	ds_read_b64 v[22:23], v20
	s_add_i32 s15, s15, 1
	s_cmp_eq_u32 s31, s15
	v_add_u32_e32 v20, 8, v20
	s_waitcnt vmcnt(0) lgkmcnt(0)
	v_pk_fma_f32 v[10:11], v[12:13], v[22:23], v[10:11] op_sel_hi:[1,0,1]
	v_pk_fma_f32 v[10:11], v[12:13], v[22:23], v[10:11] op_sel:[1,1,0] op_sel_hi:[0,1,1] neg_lo:[1,0,0]
	s_cbranch_scc1 .LBB19_88
.LBB19_84:                              ;   Parent Loop BB19_15 Depth=1
                                        ;     Parent Loop BB19_56 Depth=2
                                        ;       Parent Loop BB19_79 Depth=3
                                        ;         Parent Loop BB19_82 Depth=4
                                        ; =>        This Inner Loop Header: Depth=5
	s_and_b64 vcc, exec, s[46:47]
	s_cbranch_vccz .LBB19_86
; %bb.85:                               ;   in Loop: Header=BB19_84 Depth=5
	s_add_i32 s56, s15, s45
	s_mul_i32 s56, s56, s31
	v_add_u32_e32 v12, s56, v8
	s_cbranch_execnz .LBB19_83
	s_branch .LBB19_87
.LBB19_86:                              ;   in Loop: Header=BB19_84 Depth=5
                                        ; implicit-def: $vgpr12
.LBB19_87:                              ;   in Loop: Header=BB19_84 Depth=5
	v_add_u32_e32 v12, s15, v16
	s_branch .LBB19_83
.LBB19_88:                              ;   in Loop: Header=BB19_82 Depth=4
	s_and_b64 vcc, exec, s[46:47]
	s_cbranch_vccz .LBB19_90
; %bb.89:                               ;   in Loop: Header=BB19_82 Depth=4
	v_add_u32_e32 v12, v19, v9
	v_mad_u64_u32 v[12:13], s[56:57], v12, s31, v[8:9]
	s_cbranch_execnz .LBB19_81
	s_branch .LBB19_91
.LBB19_90:                              ;   in Loop: Header=BB19_82 Depth=4
                                        ; implicit-def: $vgpr12
.LBB19_91:                              ;   in Loop: Header=BB19_82 Depth=4
	v_add_u32_e32 v12, v19, v17
	s_branch .LBB19_81
.LBB19_92:
	s_ashr_i32 s41, s40, 31
	s_lshl_b64 s[2:3], s[40:41], 2
	s_add_u32 s2, s18, s2
	s_addc_u32 s3, s19, s3
	v_mov_b32_e32 v4, 0
	s_waitcnt lgkmcnt(0)
	global_load_dword v4, v4, s[2:3]
	s_waitcnt vmcnt(0)
	v_subrev_u32_e32 v4, s34, v4
	v_cmp_ne_u32_e32 vcc, s30, v4
	s_cbranch_vccnz .LBB19_143
; %bb.93:
	v_and_b32_e32 v4, 0x3ff, v0
	v_cmp_gt_i32_e64 s[2:3], s31, v4
	v_lshlrev_b32_e32 v5, 3, v4
	s_and_saveexec_b64 s[6:7], s[2:3]
	s_cbranch_execz .LBB19_104
; %bb.94:
	s_mul_i32 s18, s40, s31
	v_add_u32_e32 v6, s18, v4
	v_bfe_u32 v7, v0, 10, 10
	s_cmp_lg_u32 s42, 0
	v_mul_lo_u32 v10, s31, v6
	v_lshlrev_b32_e32 v6, 3, v4
	s_movk_i32 s10, 0x208
	v_cmp_gt_u32_e64 s[4:5], s31, v7
	s_cselect_b64 s[8:9], -1, 0
	s_lshl_b32 s19, s31, 6
	v_mad_u32_u24 v11, v7, s10, v6
	s_mov_b64 s[10:11], 0
	v_mov_b32_e32 v6, v4
	s_branch .LBB19_96
.LBB19_95:                              ;   in Loop: Header=BB19_96 Depth=1
	s_or_b64 exec, exec, s[12:13]
	v_add_u32_e32 v6, 64, v6
	v_cmp_le_i32_e32 vcc, s31, v6
	v_add_u32_e32 v10, s19, v10
	s_or_b64 s[10:11], vcc, s[10:11]
	v_add_u32_e32 v11, 0x200, v11
	s_andn2_b64 exec, exec, s[10:11]
	s_cbranch_execz .LBB19_104
.LBB19_96:                              ; =>This Loop Header: Depth=1
                                        ;     Child Loop BB19_99 Depth 2
	s_and_saveexec_b64 s[12:13], s[4:5]
	s_cbranch_execz .LBB19_95
; %bb.97:                               ;   in Loop: Header=BB19_96 Depth=1
	s_mov_b64 s[14:15], 0
	v_mov_b32_e32 v12, v11
	v_mov_b32_e32 v13, v7
	s_branch .LBB19_99
.LBB19_98:                              ;   in Loop: Header=BB19_99 Depth=2
	v_ashrrev_i32_e32 v9, 31, v8
	v_lshlrev_b64 v[8:9], 3, v[8:9]
	v_mov_b32_e32 v14, s21
	v_add_co_u32_e32 v8, vcc, s20, v8
	v_addc_co_u32_e32 v9, vcc, v14, v9, vcc
	global_load_dwordx2 v[8:9], v[8:9], off
	v_add_u32_e32 v13, 1, v13
	v_cmp_le_i32_e32 vcc, s31, v13
	s_or_b64 s[14:15], vcc, s[14:15]
	s_waitcnt vmcnt(0)
	ds_write_b64 v12, v[8:9]
	v_add_u32_e32 v12, 0x208, v12
	s_andn2_b64 exec, exec, s[14:15]
	s_cbranch_execz .LBB19_95
.LBB19_99:                              ;   Parent Loop BB19_96 Depth=1
                                        ; =>  This Inner Loop Header: Depth=2
	s_and_b64 vcc, exec, s[8:9]
	s_cbranch_vccz .LBB19_101
; %bb.100:                              ;   in Loop: Header=BB19_99 Depth=2
	v_add_u32_e32 v8, s18, v13
	v_mad_u64_u32 v[8:9], s[16:17], v8, s31, v[6:7]
	s_cbranch_execnz .LBB19_98
	s_branch .LBB19_102
.LBB19_101:                             ;   in Loop: Header=BB19_99 Depth=2
                                        ; implicit-def: $vgpr8
.LBB19_102:                             ;   in Loop: Header=BB19_99 Depth=2
	v_add_u32_e32 v8, v10, v13
	s_branch .LBB19_98
.LBB19_103:
	s_mov_b64 s[38:39], -1
	s_branch .LBB19_178
.LBB19_104:
	s_or_b64 exec, exec, s[6:7]
	s_cmp_lt_i32 s31, 1
	s_waitcnt lgkmcnt(0)
	s_cbranch_scc1 .LBB19_132
; %bb.105:
	s_cmp_eq_u64 s[24:25], 8
	v_cvt_f64_f32_e32 v[6:7], v1
	s_cselect_b64 vcc, -1, 0
	v_bfe_u32 v1, v0, 10, 10
	v_cndmask_b32_e32 v2, v6, v2, vcc
	v_or_b32_e32 v6, v4, v1
	s_movk_i32 s8, 0x208
	v_cndmask_b32_e32 v3, v7, v3, vcc
	s_mov_b32 s19, 0
	v_cmp_eq_u32_e64 s[4:5], 0, v6
	v_cmp_eq_u32_e64 s[6:7], 0, v1
	v_mad_u32_u24 v16, v1, s8, s8
	s_mov_b32 s18, 0xf800000
	v_mov_b32_e32 v17, 0x260
.LBB19_106:                             ; =>This Loop Header: Depth=1
                                        ;     Child Loop BB19_124 Depth 2
                                        ;       Child Loop BB19_128 Depth 3
	s_lshl_b32 s8, s19, 3
	s_mul_i32 s22, s19, 0x208
	s_add_i32 s12, s22, s8
	v_mov_b32_e32 v6, s12
	s_waitcnt lgkmcnt(0)
	ds_read_b64 v[8:9], v6
	s_and_b64 vcc, exec, s[0:1]
	s_mov_b64 s[10:11], 0
	s_cbranch_vccnz .LBB19_111
; %bb.107:                              ;   in Loop: Header=BB19_106 Depth=1
	s_waitcnt lgkmcnt(0)
	v_cmp_gt_f32_e32 vcc, 0, v8
	v_cndmask_b32_e64 v6, v8, -v8, vcc
	v_cmp_gt_f32_e32 vcc, 0, v9
	v_cndmask_b32_e64 v7, v9, -v9, vcc
	v_cmp_ngt_f32_e32 vcc, v6, v7
	s_cbranch_vccz .LBB19_112
; %bb.108:                              ;   in Loop: Header=BB19_106 Depth=1
	v_cmp_eq_f32_e32 vcc, 0, v9
	v_mov_b32_e32 v10, 0
	s_cbranch_vccnz .LBB19_110
; %bb.109:                              ;   in Loop: Header=BB19_106 Depth=1
	v_div_scale_f32 v10, s[8:9], v7, v7, v6
	v_rcp_f32_e32 v11, v10
	v_div_scale_f32 v12, vcc, v6, v7, v6
	v_fma_f32 v13, -v10, v11, 1.0
	v_fmac_f32_e32 v11, v13, v11
	v_mul_f32_e32 v13, v12, v11
	v_fma_f32 v14, -v10, v13, v12
	v_fmac_f32_e32 v13, v14, v11
	v_fma_f32 v10, -v10, v13, v12
	v_div_fmas_f32 v10, v10, v11, v13
	v_div_fixup_f32 v10, v10, v7, v6
	v_fma_f32 v10, v10, v10, 1.0
	v_mul_f32_e32 v11, 0x4f800000, v10
	v_cmp_gt_f32_e32 vcc, s18, v10
	v_cndmask_b32_e32 v10, v10, v11, vcc
	v_sqrt_f32_e32 v11, v10
	v_add_u32_e32 v12, -1, v11
	v_fma_f32 v13, -v12, v11, v10
	v_cmp_ge_f32_e64 s[8:9], 0, v13
	v_add_u32_e32 v13, 1, v11
	v_cndmask_b32_e64 v12, v11, v12, s[8:9]
	v_fma_f32 v11, -v13, v11, v10
	v_cmp_lt_f32_e64 s[8:9], 0, v11
	v_cndmask_b32_e64 v11, v12, v13, s[8:9]
	v_mul_f32_e32 v12, 0x37800000, v11
	v_cndmask_b32_e32 v11, v11, v12, vcc
	v_cmp_class_f32_e32 vcc, v10, v17
	v_cndmask_b32_e32 v10, v11, v10, vcc
	v_mul_f32_e32 v10, v7, v10
.LBB19_110:                             ;   in Loop: Header=BB19_106 Depth=1
	s_cbranch_execz .LBB19_113
	s_branch .LBB19_114
.LBB19_111:                             ;   in Loop: Header=BB19_106 Depth=1
                                        ; implicit-def: $vgpr6_vgpr7
	s_mov_b64 s[8:9], 0
	s_cbranch_execnz .LBB19_117
	s_branch .LBB19_118
.LBB19_112:                             ;   in Loop: Header=BB19_106 Depth=1
                                        ; implicit-def: $vgpr10
.LBB19_113:                             ;   in Loop: Header=BB19_106 Depth=1
	v_div_scale_f32 v10, s[8:9], v6, v6, v7
	v_rcp_f32_e32 v11, v10
	v_div_scale_f32 v12, vcc, v7, v6, v7
	v_fma_f32 v13, -v10, v11, 1.0
	v_fmac_f32_e32 v11, v13, v11
	v_mul_f32_e32 v13, v12, v11
	v_fma_f32 v14, -v10, v13, v12
	v_fmac_f32_e32 v13, v14, v11
	v_fma_f32 v10, -v10, v13, v12
	v_div_fmas_f32 v10, v10, v11, v13
	v_div_fixup_f32 v7, v10, v6, v7
	v_fma_f32 v7, v7, v7, 1.0
	v_mul_f32_e32 v10, 0x4f800000, v7
	v_cmp_gt_f32_e32 vcc, s18, v7
	v_cndmask_b32_e32 v7, v7, v10, vcc
	v_sqrt_f32_e32 v10, v7
	v_add_u32_e32 v11, -1, v10
	v_fma_f32 v12, -v11, v10, v7
	v_cmp_ge_f32_e64 s[8:9], 0, v12
	v_add_u32_e32 v12, 1, v10
	v_cndmask_b32_e64 v11, v10, v11, s[8:9]
	v_fma_f32 v10, -v12, v10, v7
	v_cmp_lt_f32_e64 s[8:9], 0, v10
	v_cndmask_b32_e64 v10, v11, v12, s[8:9]
	v_mul_f32_e32 v11, 0x37800000, v10
	v_cndmask_b32_e32 v10, v10, v11, vcc
	v_cmp_class_f32_e32 vcc, v7, v17
	v_cndmask_b32_e32 v7, v10, v7, vcc
	v_mul_f32_e32 v10, v6, v7
.LBB19_114:                             ;   in Loop: Header=BB19_106 Depth=1
	v_cvt_f64_f32_e32 v[6:7], v10
	v_mov_b32_e32 v10, s58
	v_cmp_ge_f64_e32 vcc, v[2:3], v[6:7]
	v_mov_b32_e32 v6, s35
	v_cndmask_b32_e32 v7, v9, v10, vcc
	v_cndmask_b32_e32 v6, v8, v6, vcc
	s_and_saveexec_b64 s[8:9], s[4:5]
	s_cbranch_execz .LBB19_116
; %bb.115:                              ;   in Loop: Header=BB19_106 Depth=1
	v_mov_b32_e32 v10, s12
	ds_write_b64 v10, v[6:7]
.LBB19_116:                             ;   in Loop: Header=BB19_106 Depth=1
	s_or_b64 exec, exec, s[8:9]
	s_mov_b64 s[8:9], -1
	s_branch .LBB19_118
.LBB19_117:                             ;   in Loop: Header=BB19_106 Depth=1
	s_waitcnt lgkmcnt(0)
	v_cmp_neq_f32_e32 vcc, 0, v8
	v_cmp_neq_f32_e64 s[8:9], 0, v9
	s_or_b64 s[8:9], vcc, s[8:9]
	s_mov_b64 s[10:11], -1
	v_pk_mov_b32 v[6:7], v[8:9], v[8:9] op_sel:[0,1]
.LBB19_118:                             ;   in Loop: Header=BB19_106 Depth=1
	s_andn2_b64 vcc, exec, s[8:9]
                                        ; implicit-def: $sgpr23
	s_cbranch_vccz .LBB19_121
; %bb.119:                              ;   in Loop: Header=BB19_106 Depth=1
	s_andn2_b64 vcc, exec, s[10:11]
	s_cbranch_vccz .LBB19_130
.LBB19_120:                             ;   in Loop: Header=BB19_106 Depth=1
	s_cmp_eq_u32 s23, s31
	s_cbranch_scc0 .LBB19_131
	s_branch .LBB19_132
.LBB19_121:                             ;   in Loop: Header=BB19_106 Depth=1
	s_add_i32 s23, s19, 1
	v_add_u32_e32 v18, s23, v4
	v_cmp_gt_i32_e32 vcc, s31, v18
	s_and_saveexec_b64 s[10:11], vcc
	s_cbranch_execz .LBB19_129
; %bb.122:                              ;   in Loop: Header=BB19_106 Depth=1
	s_waitcnt lgkmcnt(0)
	v_mul_f32_e32 v8, v7, v7
	v_fmac_f32_e32 v8, v6, v6
	v_div_scale_f32 v9, s[8:9], v8, v8, 1.0
	v_rcp_f32_e32 v10, v9
	v_div_scale_f32 v11, vcc, 1.0, v8, 1.0
	v_add_u32_e32 v19, s23, v1
	v_fma_f32 v12, -v9, v10, 1.0
	v_fmac_f32_e32 v10, v12, v10
	v_mul_f32_e32 v12, v11, v10
	v_fma_f32 v13, -v9, v12, v11
	v_fmac_f32_e32 v12, v13, v10
	v_fma_f32 v9, -v9, v12, v11
	v_div_fmas_f32 v9, v9, v10, v12
	v_div_fixup_f32 v8, v9, v8, 1.0
	s_mul_i32 s8, s19, 0x210
	v_cmp_gt_i32_e32 vcc, s31, v19
	v_mov_b32_e32 v9, v8
	v_mov_b32_e32 v10, v6
	;; [unrolled: 1-line block ×4, first 2 shown]
	v_add_u32_e32 v20, s8, v16
	s_mov_b64 s[12:13], 0
	v_mov_b32_e32 v21, v5
	s_branch .LBB19_124
.LBB19_123:                             ;   in Loop: Header=BB19_124 Depth=2
	s_or_b64 exec, exec, s[14:15]
	v_add_u32_e32 v18, 64, v18
	v_cmp_le_i32_e64 s[8:9], s31, v18
	s_or_b64 s[12:13], s[8:9], s[12:13]
	v_add_u32_e32 v21, 0x200, v21
	s_andn2_b64 exec, exec, s[12:13]
	s_cbranch_execz .LBB19_129
.LBB19_124:                             ;   Parent Loop BB19_106 Depth=1
                                        ; =>  This Loop Header: Depth=2
                                        ;       Child Loop BB19_128 Depth 3
	v_lshl_add_u32 v14, v18, 3, s22
	ds_read_b64 v[12:13], v14
	s_waitcnt lgkmcnt(0)
	v_pk_mul_f32 v[22:23], v[6:7], v[12:13] op_sel:[0,1] op_sel_hi:[1,0] neg_hi:[0,1]
	v_pk_fma_f32 v[12:13], v[12:13], v[10:11], v[22:23]
	v_pk_mul_f32 v[12:13], v[8:9], v[12:13]
	s_and_saveexec_b64 s[8:9], s[6:7]
	s_cbranch_execz .LBB19_126
; %bb.125:                              ;   in Loop: Header=BB19_124 Depth=2
	ds_write_b64 v14, v[12:13]
.LBB19_126:                             ;   in Loop: Header=BB19_124 Depth=2
	s_or_b64 exec, exec, s[8:9]
	s_and_saveexec_b64 s[14:15], vcc
	s_cbranch_execz .LBB19_123
; %bb.127:                              ;   in Loop: Header=BB19_124 Depth=2
	v_xor_b32_e32 v15, 0x80000000, v12
	v_mov_b32_e32 v14, v13
	s_mov_b64 s[16:17], 0
	v_mov_b32_e32 v22, v20
	v_mov_b32_e32 v23, v19
.LBB19_128:                             ;   Parent Loop BB19_106 Depth=1
                                        ;     Parent Loop BB19_124 Depth=2
                                        ; =>    This Inner Loop Header: Depth=3
	v_add_u32_e32 v28, v22, v21
	ds_read_b64 v[24:25], v22
	ds_read_b64 v[26:27], v28 offset:8
	v_add_u32_e32 v23, 1, v23
	v_cmp_le_i32_e64 s[8:9], s31, v23
	v_add_u32_e32 v22, 0x208, v22
	s_or_b64 s[16:17], s[8:9], s[16:17]
	s_waitcnt lgkmcnt(0)
	v_pk_fma_f32 v[26:27], v[12:13], v[24:25], v[26:27] op_sel_hi:[1,0,1] neg_lo:[1,0,0] neg_hi:[1,0,0]
	v_pk_fma_f32 v[24:25], v[14:15], v[24:25], v[26:27] op_sel:[0,1,0]
	ds_write_b64 v28, v[24:25] offset:8
	s_andn2_b64 exec, exec, s[16:17]
	s_cbranch_execnz .LBB19_128
	s_branch .LBB19_123
.LBB19_129:                             ;   in Loop: Header=BB19_106 Depth=1
	s_or_b64 exec, exec, s[10:11]
	s_cbranch_execnz .LBB19_120
.LBB19_130:                             ;   in Loop: Header=BB19_106 Depth=1
	s_add_i32 s23, s19, 1
	s_mov_b64 s[38:39], -1
	s_cmp_eq_u32 s23, s31
	s_cbranch_scc1 .LBB19_132
.LBB19_131:                             ;   in Loop: Header=BB19_106 Depth=1
	s_mov_b32 s19, s23
	s_branch .LBB19_106
.LBB19_132:
	s_waitcnt lgkmcnt(0)
	s_and_saveexec_b64 s[4:5], s[2:3]
	s_cbranch_execz .LBB19_142
; %bb.133:
	s_mul_i32 s14, s40, s31
	v_bfe_u32 v1, v0, 10, 10
	s_cmp_lg_u32 s42, 0
	v_add_u32_e32 v2, s14, v4
	s_movk_i32 s6, 0x208
	v_cmp_gt_u32_e64 s[0:1], s31, v1
	s_cselect_b64 s[2:3], -1, 0
	v_mul_lo_u32 v6, s31, v2
	s_lshl_b32 s15, s31, 6
	v_mad_u32_u24 v5, v1, s6, v5
	s_mov_b64 s[6:7], 0
	s_branch .LBB19_135
.LBB19_134:                             ;   in Loop: Header=BB19_135 Depth=1
	s_or_b64 exec, exec, s[8:9]
	v_add_u32_e32 v4, 64, v4
	v_cmp_le_i32_e32 vcc, s31, v4
	v_add_u32_e32 v6, s15, v6
	s_or_b64 s[6:7], vcc, s[6:7]
	v_add_u32_e32 v5, 0x200, v5
	s_andn2_b64 exec, exec, s[6:7]
	s_cbranch_execz .LBB19_142
.LBB19_135:                             ; =>This Loop Header: Depth=1
                                        ;     Child Loop BB19_138 Depth 2
	s_and_saveexec_b64 s[8:9], s[0:1]
	s_cbranch_execz .LBB19_134
; %bb.136:                              ;   in Loop: Header=BB19_135 Depth=1
	s_mov_b64 s[10:11], 0
	v_mov_b32_e32 v7, v5
	v_mov_b32_e32 v8, v1
	s_branch .LBB19_138
.LBB19_137:                             ;   in Loop: Header=BB19_138 Depth=2
	v_ashrrev_i32_e32 v3, 31, v2
	v_lshlrev_b64 v[2:3], 3, v[2:3]
	ds_read_b64 v[10:11], v7
	v_mov_b32_e32 v9, s21
	v_add_co_u32_e32 v2, vcc, s20, v2
	v_addc_co_u32_e32 v3, vcc, v9, v3, vcc
	v_add_u32_e32 v8, 1, v8
	v_cmp_le_i32_e32 vcc, s31, v8
	s_or_b64 s[10:11], vcc, s[10:11]
	v_add_u32_e32 v7, 0x208, v7
	s_waitcnt lgkmcnt(0)
	global_store_dwordx2 v[2:3], v[10:11], off
	s_andn2_b64 exec, exec, s[10:11]
	s_cbranch_execz .LBB19_134
.LBB19_138:                             ;   Parent Loop BB19_135 Depth=1
                                        ; =>  This Inner Loop Header: Depth=2
	s_and_b64 vcc, exec, s[2:3]
	s_cbranch_vccz .LBB19_140
; %bb.139:                              ;   in Loop: Header=BB19_138 Depth=2
	v_add_u32_e32 v2, s14, v8
	v_mad_u64_u32 v[2:3], s[12:13], v2, s31, v[4:5]
	s_cbranch_execnz .LBB19_137
	s_branch .LBB19_141
.LBB19_140:                             ;   in Loop: Header=BB19_138 Depth=2
                                        ; implicit-def: $vgpr2
.LBB19_141:                             ;   in Loop: Header=BB19_138 Depth=2
	v_add_u32_e32 v2, v6, v8
	s_branch .LBB19_137
.LBB19_142:
	s_or_b64 exec, exec, s[4:5]
.LBB19_143:
	s_add_i32 s22, s40, 1
	s_cmp_ge_i32 s22, s33
	s_cbranch_scc1 .LBB19_178
; %bb.144:
	v_and_b32_e32 v1, 0x3ff, v0
	s_mul_i32 s4, s31, s22
	v_add_u32_e32 v2, s4, v1
	v_bfe_u32 v6, v0, 10, 10
	s_mul_i32 s23, s40, s31
	v_mul_lo_u32 v8, s31, v2
	v_lshlrev_b32_e32 v2, 3, v1
	s_movk_i32 s35, 0x208
	s_cmp_lg_u32 s42, 0
	v_mad_u32_u24 v9, v6, s35, v2
	v_add_u32_e32 v2, s23, v6
	s_cselect_b64 s[10:11], -1, 0
	s_cmp_gt_i32 s31, 0
	v_mul_lo_u32 v2, s31, v2
	s_cselect_b64 s[4:5], -1, 0
	v_add_u32_e32 v10, s31, v2
	v_mul_u32_u24_e32 v2, 0x208, v1
	v_lshlrev_b32_e32 v3, 3, v6
	v_add3_u32 v11, v2, v3, 8
	v_cndmask_b32_e64 v2, 0, 1, s[4:5]
	v_cmp_ne_u32_e64 s[4:5], 1, v2
	v_cndmask_b32_e64 v2, 0, 1, s[10:11]
	v_cmp_gt_i32_e64 s[0:1], s31, v1
	v_cmp_gt_i32_e64 s[2:3], s31, v6
	v_add_u32_e32 v7, 1, v6
	s_mul_i32 s24, s31, s31
	s_lshl_b32 s25, s31, 6
	s_add_i32 s40, s31, 1
	v_cmp_ne_u32_e64 s[6:7], 1, v2
.LBB19_145:                             ; =>This Loop Header: Depth=1
                                        ;     Child Loop BB19_148 Depth 2
                                        ;       Child Loop BB19_151 Depth 3
                                        ;     Child Loop BB19_158 Depth 2
                                        ;       Child Loop BB19_161 Depth 3
                                        ;         Child Loop BB19_164 Depth 4
                                        ;     Child Loop BB19_169 Depth 2
                                        ;       Child Loop BB19_172 Depth 3
	s_mul_i32 s41, s22, s31
	s_and_saveexec_b64 s[8:9], s[0:1]
	s_cbranch_execz .LBB19_155
; %bb.146:                              ;   in Loop: Header=BB19_145 Depth=1
	s_mov_b64 s[12:13], 0
	v_mov_b32_e32 v3, v9
	v_mov_b32_e32 v12, v8
	;; [unrolled: 1-line block ×3, first 2 shown]
	s_branch .LBB19_148
.LBB19_147:                             ;   in Loop: Header=BB19_148 Depth=2
	s_or_b64 exec, exec, s[14:15]
	v_add_u32_e32 v2, 64, v2
	v_cmp_le_i32_e32 vcc, s31, v2
	v_add_u32_e32 v12, s25, v12
	s_or_b64 s[12:13], vcc, s[12:13]
	v_add_u32_e32 v3, 0x200, v3
	s_andn2_b64 exec, exec, s[12:13]
	s_cbranch_execz .LBB19_155
.LBB19_148:                             ;   Parent Loop BB19_145 Depth=1
                                        ; =>  This Loop Header: Depth=2
                                        ;       Child Loop BB19_151 Depth 3
	s_and_saveexec_b64 s[14:15], s[2:3]
	s_cbranch_execz .LBB19_147
; %bb.149:                              ;   in Loop: Header=BB19_148 Depth=2
	s_mov_b64 s[16:17], 0
	v_mov_b32_e32 v13, v3
	v_mov_b32_e32 v14, v6
	s_branch .LBB19_151
.LBB19_150:                             ;   in Loop: Header=BB19_151 Depth=3
	v_ashrrev_i32_e32 v5, 31, v4
	v_lshlrev_b64 v[4:5], 3, v[4:5]
	v_mov_b32_e32 v15, s21
	v_add_co_u32_e32 v4, vcc, s20, v4
	v_addc_co_u32_e32 v5, vcc, v15, v5, vcc
	global_load_dwordx2 v[4:5], v[4:5], off
	v_add_u32_e32 v14, 1, v14
	v_cmp_le_i32_e32 vcc, s31, v14
	s_or_b64 s[16:17], vcc, s[16:17]
	s_waitcnt vmcnt(0)
	ds_write_b64 v13, v[4:5]
	v_add_u32_e32 v13, 0x208, v13
	s_andn2_b64 exec, exec, s[16:17]
	s_cbranch_execz .LBB19_147
.LBB19_151:                             ;   Parent Loop BB19_145 Depth=1
                                        ;     Parent Loop BB19_148 Depth=2
                                        ; =>    This Inner Loop Header: Depth=3
	s_and_b64 vcc, exec, s[10:11]
	s_cbranch_vccz .LBB19_153
; %bb.152:                              ;   in Loop: Header=BB19_151 Depth=3
	v_add_u32_e32 v4, s41, v14
	v_mad_u64_u32 v[4:5], s[18:19], v4, s31, v[2:3]
	s_cbranch_execnz .LBB19_150
	s_branch .LBB19_154
.LBB19_153:                             ;   in Loop: Header=BB19_151 Depth=3
                                        ; implicit-def: $vgpr4
.LBB19_154:                             ;   in Loop: Header=BB19_151 Depth=3
	v_add_u32_e32 v4, v12, v14
	s_branch .LBB19_150
.LBB19_155:                             ;   in Loop: Header=BB19_145 Depth=1
	s_or_b64 exec, exec, s[8:9]
	s_and_b64 vcc, exec, s[4:5]
	s_waitcnt lgkmcnt(0)
	s_cbranch_vccnz .LBB19_166
; %bb.156:                              ;   in Loop: Header=BB19_145 Depth=1
	s_mov_b32 s42, 0
	v_mov_b32_e32 v4, v11
	v_mov_b32_e32 v5, v10
	s_branch .LBB19_158
.LBB19_157:                             ;   in Loop: Header=BB19_158 Depth=2
	s_or_b64 exec, exec, s[12:13]
	s_add_i32 s42, s42, 1
	v_add_u32_e32 v5, s40, v5
	s_cmp_eq_u32 s42, s31
	v_add_u32_e32 v4, 8, v4
	s_cbranch_scc1 .LBB19_166
.LBB19_158:                             ;   Parent Loop BB19_145 Depth=1
                                        ; =>  This Loop Header: Depth=2
                                        ;       Child Loop BB19_161 Depth 3
                                        ;         Child Loop BB19_164 Depth 4
	s_and_saveexec_b64 s[12:13], s[0:1]
	s_cbranch_execz .LBB19_157
; %bb.159:                              ;   in Loop: Header=BB19_158 Depth=2
	v_add_u32_e32 v12, s42, v7
	s_add_i32 s43, s42, s23
	v_cmp_gt_i32_e64 s[8:9], s31, v12
	s_mul_i32 s43, s43, s31
	s_mov_b64 s[14:15], 0
	v_mov_b32_e32 v13, v4
	v_mov_b32_e32 v14, v1
	s_branch .LBB19_161
.LBB19_160:                             ;   in Loop: Header=BB19_161 Depth=3
	s_or_b64 exec, exec, s[16:17]
	v_add_u32_e32 v14, 64, v14
	v_cmp_le_i32_e32 vcc, s31, v14
	s_or_b64 s[14:15], vcc, s[14:15]
	v_add_u32_e32 v13, 0x8200, v13
	s_andn2_b64 exec, exec, s[14:15]
	s_cbranch_execz .LBB19_157
.LBB19_161:                             ;   Parent Loop BB19_145 Depth=1
                                        ;     Parent Loop BB19_158 Depth=2
                                        ; =>    This Loop Header: Depth=3
                                        ;         Child Loop BB19_164 Depth 4
	s_and_saveexec_b64 s[16:17], s[8:9]
	s_cbranch_execz .LBB19_160
; %bb.162:                              ;   in Loop: Header=BB19_161 Depth=3
	v_mul_lo_u32 v2, v14, s35
	v_lshl_add_u32 v15, s42, 3, v2
	s_mov_b64 s[18:19], 0
	v_mov_b32_e32 v16, v13
	v_mov_b32_e32 v17, v5
	;; [unrolled: 1-line block ×3, first 2 shown]
	s_branch .LBB19_164
.LBB19_163:                             ;   in Loop: Header=BB19_164 Depth=4
	v_ashrrev_i32_e32 v3, 31, v2
	v_lshlrev_b64 v[2:3], 3, v[2:3]
	v_mov_b32_e32 v19, s21
	v_add_co_u32_e32 v2, vcc, s20, v2
	v_addc_co_u32_e32 v3, vcc, v19, v3, vcc
	global_load_dwordx2 v[2:3], v[2:3], off
	ds_read_b64 v[20:21], v15
	ds_read_b64 v[22:23], v16
	v_add_u32_e32 v18, 1, v18
	v_cmp_le_i32_e32 vcc, s31, v18
	v_add_u32_e32 v17, s31, v17
	s_or_b64 s[18:19], vcc, s[18:19]
	s_waitcnt vmcnt(0) lgkmcnt(0)
	v_pk_fma_f32 v[22:23], v[2:3], v[20:21], v[22:23] op_sel_hi:[1,0,1] neg_lo:[1,0,0] neg_hi:[1,0,0]
	v_pk_fma_f32 v[2:3], v[2:3], v[20:21], v[22:23] op_sel:[1,1,0] op_sel_hi:[0,1,1] neg_hi:[1,0,0]
	ds_write_b64 v16, v[2:3]
	v_add_u32_e32 v16, 8, v16
	s_andn2_b64 exec, exec, s[18:19]
	s_cbranch_execz .LBB19_160
.LBB19_164:                             ;   Parent Loop BB19_145 Depth=1
                                        ;     Parent Loop BB19_158 Depth=2
                                        ;       Parent Loop BB19_161 Depth=3
                                        ; =>      This Inner Loop Header: Depth=4
	s_and_b64 vcc, exec, s[6:7]
	v_mov_b32_e32 v2, v17
	s_cbranch_vccnz .LBB19_163
; %bb.165:                              ;   in Loop: Header=BB19_164 Depth=4
	v_add_u32_e32 v2, s43, v18
	s_branch .LBB19_163
.LBB19_166:                             ;   in Loop: Header=BB19_145 Depth=1
	s_waitcnt lgkmcnt(0)
	s_and_saveexec_b64 s[8:9], s[0:1]
	s_cbranch_execz .LBB19_176
; %bb.167:                              ;   in Loop: Header=BB19_145 Depth=1
	s_mov_b64 s[12:13], 0
	v_mov_b32_e32 v3, v9
	v_mov_b32_e32 v12, v8
	;; [unrolled: 1-line block ×3, first 2 shown]
	s_branch .LBB19_169
.LBB19_168:                             ;   in Loop: Header=BB19_169 Depth=2
	s_or_b64 exec, exec, s[14:15]
	v_add_u32_e32 v2, 64, v2
	v_cmp_le_i32_e32 vcc, s31, v2
	v_add_u32_e32 v12, s25, v12
	s_or_b64 s[12:13], vcc, s[12:13]
	v_add_u32_e32 v3, 0x200, v3
	s_andn2_b64 exec, exec, s[12:13]
	s_cbranch_execz .LBB19_176
.LBB19_169:                             ;   Parent Loop BB19_145 Depth=1
                                        ; =>  This Loop Header: Depth=2
                                        ;       Child Loop BB19_172 Depth 3
	s_and_saveexec_b64 s[14:15], s[2:3]
	s_cbranch_execz .LBB19_168
; %bb.170:                              ;   in Loop: Header=BB19_169 Depth=2
	s_mov_b64 s[16:17], 0
	v_mov_b32_e32 v13, v3
	v_mov_b32_e32 v14, v6
	s_branch .LBB19_172
.LBB19_171:                             ;   in Loop: Header=BB19_172 Depth=3
	v_ashrrev_i32_e32 v5, 31, v4
	v_lshlrev_b64 v[4:5], 3, v[4:5]
	ds_read_b64 v[16:17], v13
	v_mov_b32_e32 v15, s21
	v_add_co_u32_e32 v4, vcc, s20, v4
	v_addc_co_u32_e32 v5, vcc, v15, v5, vcc
	v_add_u32_e32 v14, 1, v14
	v_cmp_le_i32_e32 vcc, s31, v14
	s_or_b64 s[16:17], vcc, s[16:17]
	v_add_u32_e32 v13, 0x208, v13
	s_waitcnt lgkmcnt(0)
	global_store_dwordx2 v[4:5], v[16:17], off
	s_andn2_b64 exec, exec, s[16:17]
	s_cbranch_execz .LBB19_168
.LBB19_172:                             ;   Parent Loop BB19_145 Depth=1
                                        ;     Parent Loop BB19_169 Depth=2
                                        ; =>    This Inner Loop Header: Depth=3
	s_and_b64 vcc, exec, s[10:11]
	s_cbranch_vccz .LBB19_174
; %bb.173:                              ;   in Loop: Header=BB19_172 Depth=3
	v_add_u32_e32 v4, s41, v14
	v_mad_u64_u32 v[4:5], s[18:19], v4, s31, v[2:3]
	s_cbranch_execnz .LBB19_171
	s_branch .LBB19_175
.LBB19_174:                             ;   in Loop: Header=BB19_172 Depth=3
                                        ; implicit-def: $vgpr4
.LBB19_175:                             ;   in Loop: Header=BB19_172 Depth=3
	v_add_u32_e32 v4, v12, v14
	s_branch .LBB19_171
.LBB19_176:                             ;   in Loop: Header=BB19_145 Depth=1
	s_or_b64 exec, exec, s[8:9]
; %bb.177:                              ;   in Loop: Header=BB19_145 Depth=1
	s_add_i32 s22, s22, 1
	s_cmp_ge_i32 s22, s33
	v_add_u32_e32 v8, s24, v8
	s_cbranch_scc0 .LBB19_145
.LBB19_178:
	v_and_b32_e32 v1, 0x3ff, v0
	v_bfe_u32 v0, v0, 10, 10
	v_or_b32_e32 v0, v1, v0
	v_cmp_eq_u32_e32 vcc, 0, v0
	s_and_saveexec_b64 s[0:1], vcc
	s_cbranch_execz .LBB19_182
; %bb.179:
	s_add_u32 s0, s28, s36
	s_addc_u32 s1, s29, s37
	v_mov_b32_e32 v0, 0
	v_mov_b32_e32 v1, 1
	s_andn2_b64 vcc, exec, s[38:39]
	s_waitcnt vmcnt(0)
	global_store_dword v0, v1, s[0:1]
	s_cbranch_vccnz .LBB19_182
; %bb.180:
	v_mbcnt_lo_u32_b32 v0, exec_lo, 0
	v_mbcnt_hi_u32_b32 v0, exec_hi, v0
	v_cmp_eq_u32_e32 vcc, 0, v0
	s_and_b64 exec, exec, vcc
	s_cbranch_execz .LBB19_182
; %bb.181:
	s_add_i32 s0, s30, s34
	v_mov_b32_e32 v0, 0
	v_mov_b32_e32 v1, s0
	global_atomic_smin v0, v1, s[26:27]
.LBB19_182:
	s_endpgm
	.section	.rodata,"a",@progbits
	.p2align	6, 0x0
	.amdhsa_kernel _ZN9rocsparseL13bsrilu0_33_64ILj64ELj64ELj64E21rocsparse_complex_numIfEEEv20rocsparse_direction_iPKiS5_PT2_S5_iPiS5_S8_21rocsparse_index_base_imNS_24const_host_device_scalarIfEENSA_IdEENSA_IS6_EEb
		.amdhsa_group_segment_fixed_size 33280
		.amdhsa_private_segment_fixed_size 0
		.amdhsa_kernarg_size 116
		.amdhsa_user_sgpr_count 6
		.amdhsa_user_sgpr_private_segment_buffer 1
		.amdhsa_user_sgpr_dispatch_ptr 0
		.amdhsa_user_sgpr_queue_ptr 0
		.amdhsa_user_sgpr_kernarg_segment_ptr 1
		.amdhsa_user_sgpr_dispatch_id 0
		.amdhsa_user_sgpr_flat_scratch_init 0
		.amdhsa_user_sgpr_kernarg_preload_length 0
		.amdhsa_user_sgpr_kernarg_preload_offset 0
		.amdhsa_user_sgpr_private_segment_size 0
		.amdhsa_uses_dynamic_stack 0
		.amdhsa_system_sgpr_private_segment_wavefront_offset 0
		.amdhsa_system_sgpr_workgroup_id_x 1
		.amdhsa_system_sgpr_workgroup_id_y 0
		.amdhsa_system_sgpr_workgroup_id_z 0
		.amdhsa_system_sgpr_workgroup_info 0
		.amdhsa_system_vgpr_workitem_id 1
		.amdhsa_next_free_vgpr 43
		.amdhsa_next_free_sgpr 70
		.amdhsa_accum_offset 44
		.amdhsa_reserve_vcc 1
		.amdhsa_reserve_flat_scratch 0
		.amdhsa_float_round_mode_32 0
		.amdhsa_float_round_mode_16_64 0
		.amdhsa_float_denorm_mode_32 3
		.amdhsa_float_denorm_mode_16_64 3
		.amdhsa_dx10_clamp 1
		.amdhsa_ieee_mode 1
		.amdhsa_fp16_overflow 0
		.amdhsa_tg_split 0
		.amdhsa_exception_fp_ieee_invalid_op 0
		.amdhsa_exception_fp_denorm_src 0
		.amdhsa_exception_fp_ieee_div_zero 0
		.amdhsa_exception_fp_ieee_overflow 0
		.amdhsa_exception_fp_ieee_underflow 0
		.amdhsa_exception_fp_ieee_inexact 0
		.amdhsa_exception_int_div_zero 0
	.end_amdhsa_kernel
	.section	.text._ZN9rocsparseL13bsrilu0_33_64ILj64ELj64ELj64E21rocsparse_complex_numIfEEEv20rocsparse_direction_iPKiS5_PT2_S5_iPiS5_S8_21rocsparse_index_base_imNS_24const_host_device_scalarIfEENSA_IdEENSA_IS6_EEb,"axG",@progbits,_ZN9rocsparseL13bsrilu0_33_64ILj64ELj64ELj64E21rocsparse_complex_numIfEEEv20rocsparse_direction_iPKiS5_PT2_S5_iPiS5_S8_21rocsparse_index_base_imNS_24const_host_device_scalarIfEENSA_IdEENSA_IS6_EEb,comdat
.Lfunc_end19:
	.size	_ZN9rocsparseL13bsrilu0_33_64ILj64ELj64ELj64E21rocsparse_complex_numIfEEEv20rocsparse_direction_iPKiS5_PT2_S5_iPiS5_S8_21rocsparse_index_base_imNS_24const_host_device_scalarIfEENSA_IdEENSA_IS6_EEb, .Lfunc_end19-_ZN9rocsparseL13bsrilu0_33_64ILj64ELj64ELj64E21rocsparse_complex_numIfEEEv20rocsparse_direction_iPKiS5_PT2_S5_iPiS5_S8_21rocsparse_index_base_imNS_24const_host_device_scalarIfEENSA_IdEENSA_IS6_EEb
                                        ; -- End function
	.section	.AMDGPU.csdata,"",@progbits
; Kernel info:
; codeLenInByte = 5228
; NumSgprs: 74
; NumVgprs: 43
; NumAgprs: 0
; TotalNumVgprs: 43
; ScratchSize: 0
; MemoryBound: 0
; FloatMode: 240
; IeeeMode: 1
; LDSByteSize: 33280 bytes/workgroup (compile time only)
; SGPRBlocks: 9
; VGPRBlocks: 5
; NumSGPRsForWavesPerEU: 74
; NumVGPRsForWavesPerEU: 43
; AccumOffset: 44
; Occupancy: 1
; WaveLimiterHint : 1
; COMPUTE_PGM_RSRC2:SCRATCH_EN: 0
; COMPUTE_PGM_RSRC2:USER_SGPR: 6
; COMPUTE_PGM_RSRC2:TRAP_HANDLER: 0
; COMPUTE_PGM_RSRC2:TGID_X_EN: 1
; COMPUTE_PGM_RSRC2:TGID_Y_EN: 0
; COMPUTE_PGM_RSRC2:TGID_Z_EN: 0
; COMPUTE_PGM_RSRC2:TIDIG_COMP_CNT: 1
; COMPUTE_PGM_RSRC3_GFX90A:ACCUM_OFFSET: 10
; COMPUTE_PGM_RSRC3_GFX90A:TG_SPLIT: 0
	.section	.text._ZN9rocsparseL15bsrilu0_generalILj128ELj64ELb0E21rocsparse_complex_numIfEEEv20rocsparse_direction_iPKiS5_PT2_S5_iPiS5_S8_21rocsparse_index_base_imNS_24const_host_device_scalarIfEENSA_IdEENSA_IS6_EEb,"axG",@progbits,_ZN9rocsparseL15bsrilu0_generalILj128ELj64ELb0E21rocsparse_complex_numIfEEEv20rocsparse_direction_iPKiS5_PT2_S5_iPiS5_S8_21rocsparse_index_base_imNS_24const_host_device_scalarIfEENSA_IdEENSA_IS6_EEb,comdat
	.globl	_ZN9rocsparseL15bsrilu0_generalILj128ELj64ELb0E21rocsparse_complex_numIfEEEv20rocsparse_direction_iPKiS5_PT2_S5_iPiS5_S8_21rocsparse_index_base_imNS_24const_host_device_scalarIfEENSA_IdEENSA_IS6_EEb ; -- Begin function _ZN9rocsparseL15bsrilu0_generalILj128ELj64ELb0E21rocsparse_complex_numIfEEEv20rocsparse_direction_iPKiS5_PT2_S5_iPiS5_S8_21rocsparse_index_base_imNS_24const_host_device_scalarIfEENSA_IdEENSA_IS6_EEb
	.p2align	8
	.type	_ZN9rocsparseL15bsrilu0_generalILj128ELj64ELb0E21rocsparse_complex_numIfEEEv20rocsparse_direction_iPKiS5_PT2_S5_iPiS5_S8_21rocsparse_index_base_imNS_24const_host_device_scalarIfEENSA_IdEENSA_IS6_EEb,@function
_ZN9rocsparseL15bsrilu0_generalILj128ELj64ELb0E21rocsparse_complex_numIfEEEv20rocsparse_direction_iPKiS5_PT2_S5_iPiS5_S8_21rocsparse_index_base_imNS_24const_host_device_scalarIfEENSA_IdEENSA_IS6_EEb: ; @_ZN9rocsparseL15bsrilu0_generalILj128ELj64ELb0E21rocsparse_complex_numIfEEEv20rocsparse_direction_iPKiS5_PT2_S5_iPiS5_S8_21rocsparse_index_base_imNS_24const_host_device_scalarIfEENSA_IdEENSA_IS6_EEb
; %bb.0:
	s_load_dword s0, s[4:5], 0x70
	s_load_dwordx2 s[28:29], s[4:5], 0x48
	s_load_dwordx8 s[20:27], s[4:5], 0x50
	s_waitcnt lgkmcnt(0)
	s_bitcmp1_b32 s0, 0
	s_cselect_b64 s[2:3], -1, 0
	s_cmp_lg_u32 s29, 0
	s_cselect_b64 s[8:9], -1, 0
	s_cmp_eq_u32 s29, 0
	s_cselect_b64 s[12:13], -1, 0
	s_and_b64 s[0:1], s[12:13], exec
	s_cselect_b32 s10, 0, s24
	s_cselect_b32 s11, 0, s25
	s_or_b64 s[14:15], s[12:13], s[2:3]
	s_xor_b64 s[0:1], s[14:15], -1
	s_and_b64 vcc, exec, s[14:15]
	s_cbranch_vccnz .LBB20_2
; %bb.1:
	s_load_dword s7, s[22:23], 0x0
	s_mov_b64 s[10:11], s[24:25]
	s_waitcnt lgkmcnt(0)
	v_mov_b32_e32 v36, s7
	s_andn2_b64 vcc, exec, s[0:1]
	v_pk_mov_b32 v[8:9], s[10:11], s[10:11] op_sel:[0,1]
	s_cbranch_vccz .LBB20_3
	s_branch .LBB20_4
.LBB20_2:
	v_mov_b32_e32 v1, s22
	v_cndmask_b32_e64 v36, v1, 0, s[12:13]
	s_andn2_b64 vcc, exec, s[0:1]
	v_pk_mov_b32 v[8:9], s[10:11], s[10:11] op_sel:[0,1]
	s_cbranch_vccnz .LBB20_4
.LBB20_3:
	v_pk_mov_b32 v[2:3], s[24:25], s[24:25] op_sel:[0,1]
	flat_load_dwordx2 v[8:9], v[2:3]
.LBB20_4:
	v_cndmask_b32_e64 v1, 0, 1, s[8:9]
	s_mov_b32 s60, 0
	v_cmp_ne_u32_e64 s[0:1], 1, v1
	s_andn2_b64 vcc, exec, s[8:9]
	s_mov_b32 s33, 0
	s_cbranch_vccnz .LBB20_10
; %bb.5:
	s_xor_b64 s[8:9], s[2:3], -1
	v_cndmask_b32_e64 v1, 0, 1, s[8:9]
	v_cmp_ne_u32_e64 s[2:3], 1, v1
	s_andn2_b64 vcc, exec, s[8:9]
	s_mov_b32 s33, s26
	s_cbranch_vccnz .LBB20_7
; %bb.6:
	s_load_dword s33, s[26:27], 0x0
.LBB20_7:
	s_and_b64 vcc, exec, s[2:3]
	s_cbranch_vccnz .LBB20_9
; %bb.8:
	s_load_dword s27, s[26:27], 0x4
.LBB20_9:
	s_waitcnt lgkmcnt(0)
	s_mov_b32 s60, s27
.LBB20_10:
	s_load_dwordx2 s[30:31], s[4:5], 0x0
	s_lshl_b32 s2, s6, 1
	v_lshrrev_b32_e32 v1, 6, v0
	s_and_b32 s2, s2, 0x3fffffe
	v_or_b32_e32 v1, s2, v1
	s_waitcnt lgkmcnt(0)
	v_cmp_gt_i32_e32 vcc, s31, v1
	s_and_saveexec_b64 s[2:3], vcc
	s_cbranch_execz .LBB20_161
; %bb.11:
	s_load_dwordx4 s[24:27], s[4:5], 0x30
	s_load_dwordx2 s[22:23], s[4:5], 0x40
	v_lshlrev_b32_e32 v1, 2, v1
	s_load_dwordx8 s[12:19], s[4:5], 0x8
	v_and_b32_e32 v0, 63, v0
	s_waitcnt lgkmcnt(0)
	global_load_dword v2, v1, s[26:27]
	s_mov_b64 s[2:3], -1
	v_mov_b32_e32 v1, s19
	s_waitcnt vmcnt(0)
	v_ashrrev_i32_e32 v3, 31, v2
	v_lshlrev_b64 v[4:5], 2, v[2:3]
	v_add_co_u32_e32 v6, vcc, s18, v4
	v_addc_co_u32_e32 v7, vcc, v1, v5, vcc
	global_load_dword v6, v[6:7], off
	s_waitcnt vmcnt(0)
	v_cmp_ne_u32_e32 vcc, -1, v6
	s_and_saveexec_b64 s[26:27], vcc
	s_cbranch_execz .LBB20_155
; %bb.12:
	v_mov_b32_e32 v1, s13
	v_add_co_u32_e32 v10, vcc, s12, v4
	v_addc_co_u32_e32 v11, vcc, v1, v5, vcc
	global_load_dwordx2 v[10:11], v[10:11], off
	s_load_dword s29, s[4:5], 0x28
	s_mov_b64 s[6:7], 0
	s_waitcnt vmcnt(0)
	v_subrev_u32_e32 v10, s28, v10
	v_subrev_u32_e32 v1, s28, v11
	v_cmp_lt_i32_e32 vcc, v10, v6
	s_and_saveexec_b64 s[34:35], vcc
	s_cbranch_execz .LBB20_84
; %bb.13:
	s_waitcnt lgkmcnt(0)
	s_cmp_gt_i32 s29, 0
	s_cselect_b64 s[8:9], -1, 0
	s_cmp_lg_u32 s30, 0
	s_cselect_b64 s[36:37], -1, 0
	v_add_u32_e32 v12, v10, v0
	s_add_i32 s31, s31, 1
	v_ashrrev_i32_e32 v13, 31, v12
	s_add_u32 s61, s12, 4
	v_lshlrev_b64 v[14:15], 2, v[12:13]
	s_addc_u32 s62, s13, 0
	v_cndmask_b32_e64 v11, 0, 1, s[8:9]
	v_mov_b32_e32 v3, s15
	v_add_co_u32_e32 v14, vcc, s14, v14
	s_add_u32 s63, s14, 0x100
	v_mad_u64_u32 v[16:17], s[10:11], s29, v10, v[0:1]
	v_cmp_ne_u32_e64 s[8:9], 1, v11
	v_mbcnt_lo_u32_b32 v11, -1, 0
	v_cmp_gt_i32_e64 s[2:3], s29, v0
	v_cmp_le_i32_e64 s[4:5], s29, v0
	v_cmp_lt_i32_e64 s[6:7], v12, v1
	v_addc_co_u32_e32 v15, vcc, v3, v15, vcc
	s_addc_u32 s64, s15, 0
	v_mul_lo_u32 v7, s29, v16
	s_mul_i32 s65, s29, s29
	s_lshl_b32 s66, s29, 6
	s_mov_b64 s[44:45], 0
	s_mov_b64 s[38:39], 0
	v_mov_b32_e32 v13, s19
	v_mbcnt_hi_u32_b32 v37, -1, v11
                                        ; implicit-def: $sgpr40_sgpr41
                                        ; implicit-def: $sgpr42_sgpr43
	s_branch .LBB20_16
.LBB20_14:                              ;   in Loop: Header=BB20_16 Depth=1
	s_or_b64 exec, exec, s[12:13]
	s_andn2_b64 s[12:13], s[42:43], exec
	s_and_b64 s[42:43], s[44:45], exec
	s_or_b64 s[42:43], s[12:13], s[42:43]
.LBB20_15:                              ;   in Loop: Header=BB20_16 Depth=1
	s_or_b64 exec, exec, s[46:47]
	v_add_u32_e32 v10, 1, v10
	v_cmp_ge_i32_e32 vcc, v10, v6
	s_xor_b64 s[10:11], s[10:11], -1
	s_or_b64 s[10:11], s[10:11], vcc
	s_and_b64 s[10:11], exec, s[10:11]
	s_or_b64 s[38:39], s[10:11], s[38:39]
	s_andn2_b64 s[10:11], s[40:41], exec
	s_and_b64 s[12:13], s[42:43], exec
	v_add_u32_e32 v7, s65, v7
	s_or_b64 s[40:41], s[10:11], s[12:13]
	s_mov_b64 s[44:45], s[42:43]
	s_andn2_b64 exec, exec, s[38:39]
	s_cbranch_execz .LBB20_83
.LBB20_16:                              ; =>This Loop Header: Depth=1
                                        ;     Child Loop BB20_19 Depth 2
                                        ;     Child Loop BB20_24 Depth 2
                                        ;       Child Loop BB20_29 Depth 3
                                        ;         Child Loop BB20_39 Depth 4
                                        ;     Child Loop BB20_57 Depth 2
                                        ;       Child Loop BB20_62 Depth 3
                                        ;       Child Loop BB20_69 Depth 3
                                        ;         Child Loop BB20_72 Depth 4
                                        ;           Child Loop BB20_74 Depth 5
	v_ashrrev_i32_e32 v11, 31, v10
	v_lshlrev_b64 v[16:17], 2, v[10:11]
	v_add_co_u32_e32 v16, vcc, s14, v16
	v_addc_co_u32_e32 v17, vcc, v3, v17, vcc
	global_load_dword v11, v[16:17], off
	s_or_b64 s[42:43], s[42:43], exec
	s_waitcnt vmcnt(0)
	v_subrev_u32_e32 v16, s28, v11
	v_ashrrev_i32_e32 v17, 31, v16
	v_lshlrev_b64 v[16:17], 2, v[16:17]
	s_waitcnt lgkmcnt(0)
	v_add_co_u32_e32 v18, vcc, s18, v16
	v_addc_co_u32_e32 v19, vcc, v13, v17, vcc
	global_load_dword v25, v[18:19], off
	s_waitcnt vmcnt(0)
	v_cmp_ne_u32_e64 s[10:11], -1, v25
	s_and_saveexec_b64 s[46:47], s[10:11]
	s_cbranch_execz .LBB20_15
; %bb.17:                               ;   in Loop: Header=BB20_16 Depth=1
	v_mov_b32_e32 v11, s62
	v_add_co_u32_e32 v18, vcc, s61, v16
	v_addc_co_u32_e32 v19, vcc, v11, v17, vcc
	v_mov_b32_e32 v11, s25
	v_add_co_u32_e32 v16, vcc, s24, v16
	v_addc_co_u32_e32 v17, vcc, v11, v17, vcc
	global_load_dword v38, v[18:19], off
	global_load_dword v11, v[16:17], off glc
	s_waitcnt vmcnt(0)
	v_cmp_eq_u32_e32 vcc, 0, v11
	s_and_saveexec_b64 s[12:13], vcc
	s_cbranch_execz .LBB20_20
; %bb.18:                               ;   in Loop: Header=BB20_16 Depth=1
	s_mov_b64 s[48:49], 0
.LBB20_19:                              ;   Parent Loop BB20_16 Depth=1
                                        ; =>  This Inner Loop Header: Depth=2
	global_load_dword v11, v[16:17], off glc
	s_waitcnt vmcnt(0)
	v_cmp_ne_u32_e32 vcc, 0, v11
	s_or_b64 s[48:49], vcc, s[48:49]
	s_andn2_b64 exec, exec, s[48:49]
	s_cbranch_execnz .LBB20_19
.LBB20_20:                              ;   in Loop: Header=BB20_16 Depth=1
	s_or_b64 exec, exec, s[12:13]
	s_and_b64 vcc, exec, s[8:9]
	v_mul_lo_u32 v11, v10, s29
	buffer_wbinvl1_vol
	s_cbranch_vccnz .LBB20_53
; %bb.21:                               ;   in Loop: Header=BB20_16 Depth=1
	v_mul_lo_u32 v17, v25, s29
	s_mov_b64 s[48:49], 0
	v_mov_b32_e32 v16, 0
	s_branch .LBB20_24
.LBB20_22:                              ;   in Loop: Header=BB20_24 Depth=2
	s_or_b64 exec, exec, s[52:53]
	v_mov_b32_e32 v16, v39
.LBB20_23:                              ;   in Loop: Header=BB20_24 Depth=2
	s_or_b64 exec, exec, s[50:51]
	v_cmp_eq_u32_e32 vcc, s29, v16
	s_or_b64 s[48:49], vcc, s[48:49]
	s_andn2_b64 exec, exec, s[48:49]
	s_cbranch_execz .LBB20_52
.LBB20_24:                              ;   Parent Loop BB20_16 Depth=1
                                        ; =>  This Loop Header: Depth=2
                                        ;       Child Loop BB20_29 Depth 3
                                        ;         Child Loop BB20_39 Depth 4
	v_add_u32_e32 v39, 1, v16
	s_and_saveexec_b64 s[12:13], s[4:5]
	s_xor_b64 s[12:13], exec, s[12:13]
; %bb.25:                               ;   in Loop: Header=BB20_24 Depth=2
	v_add_u32_e32 v16, 1, v16
                                        ; implicit-def: $vgpr39
; %bb.26:                               ;   in Loop: Header=BB20_24 Depth=2
	s_andn2_saveexec_b64 s[50:51], s[12:13]
	s_cbranch_execz .LBB20_23
; %bb.27:                               ;   in Loop: Header=BB20_24 Depth=2
	v_add_u32_e32 v18, v16, v17
	v_mul_lo_u32 v40, v18, s29
	v_add_u32_e32 v18, v40, v16
	v_ashrrev_i32_e32 v19, 31, v18
	v_lshlrev_b64 v[18:19], 3, v[18:19]
	v_mov_b32_e32 v20, s17
	v_add_co_u32_e32 v18, vcc, s16, v18
	v_addc_co_u32_e32 v19, vcc, v20, v19, vcc
	global_load_dwordx2 v[18:19], v[18:19], off
	v_add_u32_e32 v20, v16, v11
	v_cmp_gt_i32_e64 s[12:13], s29, v39
	s_mov_b64 s[52:53], 0
	v_mov_b32_e32 v41, v7
	v_mul_lo_u32 v42, v20, s29
	s_waitcnt vmcnt(0)
	v_mul_f32_e32 v22, v19, v19
	v_fmac_f32_e32 v22, v18, v18
	v_div_scale_f32 v23, s[54:55], v22, v22, 1.0
	v_rcp_f32_e32 v24, v23
	v_div_scale_f32 v26, vcc, 1.0, v22, 1.0
	v_mov_b32_e32 v20, v18
	v_fma_f32 v27, -v23, v24, 1.0
	v_fmac_f32_e32 v24, v27, v24
	v_mul_f32_e32 v27, v26, v24
	v_fma_f32 v28, -v23, v27, v26
	v_fmac_f32_e32 v27, v28, v24
	v_fma_f32 v23, -v23, v27, v26
	v_div_fmas_f32 v23, v23, v24, v27
	v_div_fixup_f32 v22, v23, v22, 1.0
	v_mov_b32_e32 v21, v18
	v_mov_b32_e32 v18, v19
	;; [unrolled: 1-line block ×4, first 2 shown]
	s_branch .LBB20_29
.LBB20_28:                              ;   in Loop: Header=BB20_29 Depth=3
	s_or_b64 exec, exec, s[54:55]
	v_add_u32_e32 v24, 64, v24
	v_cmp_le_i32_e32 vcc, s29, v24
	s_or_b64 s[52:53], vcc, s[52:53]
	v_add_u32_e32 v41, s66, v41
	s_andn2_b64 exec, exec, s[52:53]
	s_cbranch_execz .LBB20_22
.LBB20_29:                              ;   Parent Loop BB20_16 Depth=1
                                        ;     Parent Loop BB20_24 Depth=2
                                        ; =>    This Loop Header: Depth=3
                                        ;         Child Loop BB20_39 Depth 4
	s_and_b64 vcc, exec, s[36:37]
	v_add_u32_e32 v28, v24, v42
	s_cbranch_vccz .LBB20_50
; %bb.30:                               ;   in Loop: Header=BB20_29 Depth=3
	v_add_u32_e32 v26, v24, v42
	v_add_u32_e32 v29, v24, v11
	s_cbranch_execnz .LBB20_32
.LBB20_31:                              ;   in Loop: Header=BB20_29 Depth=3
	v_mad_u64_u32 v[26:27], s[54:55], v29, s29, v[16:17]
.LBB20_32:                              ;   in Loop: Header=BB20_29 Depth=3
	v_ashrrev_i32_e32 v27, 31, v26
	v_lshlrev_b64 v[26:27], 3, v[26:27]
	v_mov_b32_e32 v30, s17
	v_add_co_u32_e32 v26, vcc, s16, v26
	v_addc_co_u32_e32 v27, vcc, v30, v27, vcc
	global_load_dwordx2 v[26:27], v[26:27], off
	s_and_b64 vcc, exec, s[36:37]
	s_cbranch_vccz .LBB20_51
; %bb.33:                               ;   in Loop: Header=BB20_29 Depth=3
	s_cbranch_execnz .LBB20_35
.LBB20_34:                              ;   in Loop: Header=BB20_29 Depth=3
	v_mad_u64_u32 v[28:29], s[54:55], v29, s29, v[16:17]
.LBB20_35:                              ;   in Loop: Header=BB20_29 Depth=3
	v_ashrrev_i32_e32 v29, 31, v28
	s_waitcnt vmcnt(0)
	v_pk_mul_f32 v[30:31], v[18:19], v[26:27] op_sel:[0,1] op_sel_hi:[1,0] neg_hi:[0,1]
	v_lshlrev_b64 v[28:29], 3, v[28:29]
	v_pk_fma_f32 v[26:27], v[26:27], v[20:21], v[30:31]
	v_mov_b32_e32 v30, s17
	v_add_co_u32_e32 v28, vcc, s16, v28
	v_pk_mul_f32 v[26:27], v[22:23], v[26:27]
	v_addc_co_u32_e32 v29, vcc, v30, v29, vcc
	global_store_dwordx2 v[28:29], v[26:27], off
	s_and_saveexec_b64 s[54:55], s[12:13]
	s_cbranch_execz .LBB20_28
; %bb.36:                               ;   in Loop: Header=BB20_29 Depth=3
	v_xor_b32_e32 v29, 0x80000000, v26
	v_mov_b32_e32 v28, v27
	s_mov_b64 s[56:57], 0
	v_mov_b32_e32 v43, v39
	s_branch .LBB20_39
.LBB20_37:                              ;   in Loop: Header=BB20_39 Depth=4
	v_mov_b32_e32 v34, v44
.LBB20_38:                              ;   in Loop: Header=BB20_39 Depth=4
	s_waitcnt vmcnt(0)
	v_pk_fma_f32 v[32:33], v[26:27], v[30:31], v[32:33] op_sel_hi:[1,0,1] neg_lo:[1,0,0] neg_hi:[1,0,0]
	v_ashrrev_i32_e32 v35, 31, v34
	v_pk_fma_f32 v[30:31], v[28:29], v[30:31], v[32:33] op_sel:[0,1,0]
	v_lshlrev_b64 v[32:33], 3, v[34:35]
	v_mov_b32_e32 v34, s17
	v_add_co_u32_e32 v32, vcc, s16, v32
	v_addc_co_u32_e32 v33, vcc, v34, v33, vcc
	v_add_u32_e32 v43, 1, v43
	v_cmp_le_i32_e32 vcc, s29, v43
	s_or_b64 s[56:57], vcc, s[56:57]
	global_store_dwordx2 v[32:33], v[30:31], off
	s_andn2_b64 exec, exec, s[56:57]
	s_cbranch_execz .LBB20_28
.LBB20_39:                              ;   Parent Loop BB20_16 Depth=1
                                        ;     Parent Loop BB20_24 Depth=2
                                        ;       Parent Loop BB20_29 Depth=3
                                        ; =>      This Inner Loop Header: Depth=4
	s_and_b64 vcc, exec, s[36:37]
	s_cbranch_vccz .LBB20_47
; %bb.40:                               ;   in Loop: Header=BB20_39 Depth=4
	v_add_u32_e32 v30, v43, v17
	v_mad_u64_u32 v[30:31], s[58:59], v30, s29, v[16:17]
	s_cbranch_execnz .LBB20_42
.LBB20_41:                              ;   in Loop: Header=BB20_39 Depth=4
	v_add_u32_e32 v30, v40, v43
.LBB20_42:                              ;   in Loop: Header=BB20_39 Depth=4
	v_ashrrev_i32_e32 v31, 31, v30
	v_lshlrev_b64 v[30:31], 3, v[30:31]
	v_mov_b32_e32 v32, s17
	v_add_co_u32_e32 v30, vcc, s16, v30
	v_addc_co_u32_e32 v31, vcc, v32, v31, vcc
	global_load_dwordx2 v[30:31], v[30:31], off
	s_and_b64 vcc, exec, s[36:37]
	v_add_u32_e32 v34, v43, v11
	s_cbranch_vccz .LBB20_48
; %bb.43:                               ;   in Loop: Header=BB20_39 Depth=4
	v_mad_u64_u32 v[32:33], s[58:59], v34, s29, v[24:25]
	v_add_u32_e32 v44, v41, v43
	s_cbranch_execnz .LBB20_45
.LBB20_44:                              ;   in Loop: Header=BB20_39 Depth=4
	v_add_u32_e32 v32, v41, v43
.LBB20_45:                              ;   in Loop: Header=BB20_39 Depth=4
	v_ashrrev_i32_e32 v33, 31, v32
	v_lshlrev_b64 v[32:33], 3, v[32:33]
	v_mov_b32_e32 v35, s17
	v_add_co_u32_e32 v32, vcc, s16, v32
	v_addc_co_u32_e32 v33, vcc, v35, v33, vcc
	global_load_dwordx2 v[32:33], v[32:33], off
	s_and_b64 vcc, exec, s[36:37]
	s_cbranch_vccz .LBB20_49
; %bb.46:                               ;   in Loop: Header=BB20_39 Depth=4
	v_mad_u64_u32 v[34:35], s[58:59], v34, s29, v[24:25]
	s_cbranch_execnz .LBB20_38
	s_branch .LBB20_37
.LBB20_47:                              ;   in Loop: Header=BB20_39 Depth=4
                                        ; implicit-def: $vgpr30
	s_branch .LBB20_41
.LBB20_48:                              ;   in Loop: Header=BB20_39 Depth=4
                                        ; implicit-def: $vgpr32
	v_add_u32_e32 v44, v41, v43
	s_branch .LBB20_44
.LBB20_49:                              ;   in Loop: Header=BB20_39 Depth=4
                                        ; implicit-def: $vgpr34
	s_branch .LBB20_37
.LBB20_50:                              ;   in Loop: Header=BB20_29 Depth=3
                                        ; implicit-def: $vgpr26
	v_add_u32_e32 v29, v24, v11
	s_branch .LBB20_31
.LBB20_51:                              ;   in Loop: Header=BB20_29 Depth=3
                                        ; implicit-def: $vgpr28
	s_branch .LBB20_34
.LBB20_52:                              ;   in Loop: Header=BB20_16 Depth=1
	s_or_b64 exec, exec, s[48:49]
.LBB20_53:                              ;   in Loop: Header=BB20_16 Depth=1
	v_subrev_u32_e32 v26, s28, v38
	v_add_u32_e32 v16, 1, v25
	v_cmp_lt_i32_e32 vcc, v16, v26
	s_and_saveexec_b64 s[12:13], vcc
	s_cbranch_execz .LBB20_14
; %bb.54:                               ;   in Loop: Header=BB20_16 Depth=1
	v_mul_lo_u32 v27, s65, v16
	s_mov_b64 s[48:49], 0
	s_branch .LBB20_57
.LBB20_55:                              ;   in Loop: Header=BB20_57 Depth=2
	s_or_b64 exec, exec, s[50:51]
.LBB20_56:                              ;   in Loop: Header=BB20_57 Depth=2
	v_add_u32_e32 v16, 1, v16
	v_cmp_ge_i32_e32 vcc, v16, v26
	s_or_b64 s[48:49], vcc, s[48:49]
	v_add_u32_e32 v27, s65, v27
	s_andn2_b64 exec, exec, s[48:49]
	s_cbranch_execz .LBB20_14
.LBB20_57:                              ;   Parent Loop BB20_16 Depth=1
                                        ; =>  This Loop Header: Depth=2
                                        ;       Child Loop BB20_62 Depth 3
                                        ;       Child Loop BB20_69 Depth 3
                                        ;         Child Loop BB20_72 Depth 4
                                        ;           Child Loop BB20_74 Depth 5
	v_ashrrev_i32_e32 v17, 31, v16
	s_waitcnt lgkmcnt(0)
	v_lshlrev_b64 v[18:19], 2, v[16:17]
	v_mov_b32_e32 v17, s15
	v_add_co_u32_e32 v18, vcc, s14, v18
	v_addc_co_u32_e32 v19, vcc, v17, v19, vcc
	global_load_dword v17, v[18:19], off
	v_mov_b32_e32 v19, s31
	s_and_saveexec_b64 s[50:51], s[6:7]
	s_cbranch_execz .LBB20_59
; %bb.58:                               ;   in Loop: Header=BB20_57 Depth=2
	global_load_dword v18, v[14:15], off
	s_waitcnt vmcnt(0)
	v_subrev_u32_e32 v19, s28, v18
.LBB20_59:                              ;   in Loop: Header=BB20_57 Depth=2
	s_or_b64 exec, exec, s[50:51]
	s_waitcnt vmcnt(0)
	v_subrev_u32_e32 v17, s28, v17
	v_cmp_lt_i32_e32 vcc, v19, v17
	v_mov_b32_e32 v20, v12
	s_and_saveexec_b64 s[50:51], vcc
	s_cbranch_execz .LBB20_65
; %bb.60:                               ;   in Loop: Header=BB20_57 Depth=2
	s_mov_b64 s[52:53], 0
	v_mov_b32_e32 v18, v12
	s_branch .LBB20_62
.LBB20_61:                              ;   in Loop: Header=BB20_62 Depth=3
	s_or_b64 exec, exec, s[54:55]
	v_cmp_ge_i32_e32 vcc, v19, v17
	s_or_b64 s[52:53], vcc, s[52:53]
	v_mov_b32_e32 v18, v20
	s_andn2_b64 exec, exec, s[52:53]
	s_cbranch_execz .LBB20_64
.LBB20_62:                              ;   Parent Loop BB20_16 Depth=1
                                        ;     Parent Loop BB20_57 Depth=2
                                        ; =>    This Inner Loop Header: Depth=3
	v_add_u32_e32 v20, 64, v18
	v_cmp_lt_i32_e32 vcc, v20, v1
	v_mov_b32_e32 v19, s31
	s_and_saveexec_b64 s[54:55], vcc
	s_cbranch_execz .LBB20_61
; %bb.63:                               ;   in Loop: Header=BB20_62 Depth=3
	v_ashrrev_i32_e32 v19, 31, v18
	v_lshlrev_b64 v[18:19], 2, v[18:19]
	v_mov_b32_e32 v21, s64
	v_add_co_u32_e32 v18, vcc, s63, v18
	v_addc_co_u32_e32 v19, vcc, v21, v19, vcc
	global_load_dword v18, v[18:19], off
	s_waitcnt vmcnt(0)
	v_subrev_u32_e32 v19, s28, v18
	s_branch .LBB20_61
.LBB20_64:                              ;   in Loop: Header=BB20_57 Depth=2
	s_or_b64 exec, exec, s[52:53]
.LBB20_65:                              ;   in Loop: Header=BB20_57 Depth=2
	s_or_b64 exec, exec, s[50:51]
	v_cmp_eq_u32_e32 vcc, v19, v17
	s_cbranch_vccz .LBB20_56
; %bb.66:                               ;   in Loop: Header=BB20_57 Depth=2
	s_ff1_i32_b64 s19, vcc
	v_and_or_b32 v17, v37, 64, s19
	v_lshlrev_b32_e32 v17, 2, v17
	ds_bpermute_b32 v18, v17, v20
	s_and_saveexec_b64 s[50:51], s[2:3]
	s_cbranch_execz .LBB20_55
; %bb.67:                               ;   in Loop: Header=BB20_57 Depth=2
	v_mul_lo_u32 v17, v16, s29
	s_waitcnt lgkmcnt(0)
	v_mul_lo_u32 v19, v18, s29
	s_mov_b64 s[52:53], 0
	v_mov_b32_e32 v28, v7
	v_mov_b32_e32 v18, v0
	s_branch .LBB20_69
.LBB20_68:                              ;   in Loop: Header=BB20_69 Depth=3
	v_add_u32_e32 v18, 64, v18
	v_cmp_le_i32_e32 vcc, s29, v18
	s_or_b64 s[52:53], vcc, s[52:53]
	v_add_u32_e32 v28, s66, v28
	s_andn2_b64 exec, exec, s[52:53]
	s_cbranch_execz .LBB20_55
.LBB20_69:                              ;   Parent Loop BB20_16 Depth=1
                                        ;     Parent Loop BB20_57 Depth=2
                                        ; =>    This Loop Header: Depth=3
                                        ;         Child Loop BB20_72 Depth 4
                                        ;           Child Loop BB20_74 Depth 5
	v_add_u32_e32 v20, v18, v19
	v_mul_lo_u32 v29, v20, s29
	s_mov_b32 s19, 0
	v_mov_b32_e32 v30, v27
	s_branch .LBB20_72
.LBB20_70:                              ;   in Loop: Header=BB20_72 Depth=4
	v_add_u32_e32 v22, s19, v29
.LBB20_71:                              ;   in Loop: Header=BB20_72 Depth=4
	v_ashrrev_i32_e32 v23, 31, v22
	v_lshlrev_b64 v[22:23], 3, v[22:23]
	v_mov_b32_e32 v24, s17
	v_add_co_u32_e32 v22, vcc, s16, v22
	v_addc_co_u32_e32 v23, vcc, v24, v23, vcc
	global_load_dwordx2 v[24:25], v[22:23], off
	s_add_i32 s19, s19, 1
	s_cmp_eq_u32 s19, s29
	v_add_u32_e32 v30, 1, v30
	s_waitcnt vmcnt(0)
	v_pk_add_f32 v[20:21], v[24:25], v[20:21] neg_lo:[0,1] neg_hi:[0,1]
	global_store_dwordx2 v[22:23], v[20:21], off
	s_cbranch_scc1 .LBB20_68
.LBB20_72:                              ;   Parent Loop BB20_16 Depth=1
                                        ;     Parent Loop BB20_57 Depth=2
                                        ;       Parent Loop BB20_69 Depth=3
                                        ; =>      This Loop Header: Depth=4
                                        ;           Child Loop BB20_74 Depth 5
	v_add_u32_e32 v20, s19, v17
	v_mul_lo_u32 v31, v20, s29
	v_mov_b32_e32 v20, 0
	v_mov_b32_e32 v32, v30
	s_mov_b32 s56, 0
	v_mov_b32_e32 v21, v20
	s_branch .LBB20_74
.LBB20_73:                              ;   in Loop: Header=BB20_74 Depth=5
	v_ashrrev_i32_e32 v25, 31, v24
	v_lshlrev_b64 v[24:25], 3, v[24:25]
	v_mov_b32_e32 v33, s17
	v_add_co_u32_e32 v24, vcc, s16, v24
	v_addc_co_u32_e32 v25, vcc, v33, v25, vcc
	global_load_dwordx2 v[24:25], v[24:25], off
	s_add_i32 s56, s56, 1
	s_cmp_eq_u32 s29, s56
	v_add_u32_e32 v32, s29, v32
	s_waitcnt vmcnt(0)
	v_pk_fma_f32 v[20:21], v[22:23], v[24:25], v[20:21] op_sel_hi:[1,0,1]
	v_pk_fma_f32 v[20:21], v[22:23], v[24:25], v[20:21] op_sel:[1,1,0] op_sel_hi:[0,1,1] neg_lo:[1,0,0]
	s_cbranch_scc1 .LBB20_80
.LBB20_74:                              ;   Parent Loop BB20_16 Depth=1
                                        ;     Parent Loop BB20_57 Depth=2
                                        ;       Parent Loop BB20_69 Depth=3
                                        ;         Parent Loop BB20_72 Depth=4
                                        ; =>        This Inner Loop Header: Depth=5
	s_and_b64 vcc, exec, s[36:37]
	s_cbranch_vccz .LBB20_79
; %bb.75:                               ;   in Loop: Header=BB20_74 Depth=5
	v_add_u32_e32 v22, s56, v11
	v_mad_u64_u32 v[22:23], s[54:55], v22, s29, v[18:19]
	s_cbranch_execnz .LBB20_77
.LBB20_76:                              ;   in Loop: Header=BB20_74 Depth=5
	v_add_u32_e32 v22, s56, v28
.LBB20_77:                              ;   in Loop: Header=BB20_74 Depth=5
	v_ashrrev_i32_e32 v23, 31, v22
	v_lshlrev_b64 v[22:23], 3, v[22:23]
	v_mov_b32_e32 v24, s17
	v_add_co_u32_e32 v22, vcc, s16, v22
	v_addc_co_u32_e32 v23, vcc, v24, v23, vcc
	global_load_dwordx2 v[22:23], v[22:23], off
	s_andn2_b64 vcc, exec, s[36:37]
	v_mov_b32_e32 v24, v32
	s_cbranch_vccnz .LBB20_73
; %bb.78:                               ;   in Loop: Header=BB20_74 Depth=5
	v_add_u32_e32 v24, s56, v31
	s_branch .LBB20_73
.LBB20_79:                              ;   in Loop: Header=BB20_74 Depth=5
                                        ; implicit-def: $vgpr22
	s_branch .LBB20_76
.LBB20_80:                              ;   in Loop: Header=BB20_72 Depth=4
	s_and_b64 vcc, exec, s[36:37]
	s_cbranch_vccz .LBB20_82
; %bb.81:                               ;   in Loop: Header=BB20_72 Depth=4
	v_add_u32_e32 v22, s19, v19
	v_mad_u64_u32 v[22:23], s[54:55], v22, s29, v[18:19]
	s_cbranch_execnz .LBB20_71
	s_branch .LBB20_70
.LBB20_82:                              ;   in Loop: Header=BB20_72 Depth=4
                                        ; implicit-def: $vgpr22
	s_branch .LBB20_70
.LBB20_83:
	s_or_b64 exec, exec, s[38:39]
	s_and_b64 s[6:7], s[40:41], exec
.LBB20_84:
	s_or_b64 exec, exec, s[34:35]
	v_ashrrev_i32_e32 v7, 31, v6
	v_lshlrev_b64 v[10:11], 2, v[6:7]
	v_mov_b32_e32 v3, s15
	v_add_co_u32_e32 v10, vcc, s14, v10
	v_addc_co_u32_e32 v11, vcc, v3, v11, vcc
	global_load_dword v3, v[10:11], off
	s_waitcnt lgkmcnt(0)
	s_cmp_gt_i32 s29, 0
	s_cselect_b64 s[8:9], -1, 0
	s_waitcnt vmcnt(0)
	v_subrev_u32_e32 v3, s28, v3
	v_cmp_eq_u32_e32 vcc, v3, v2
	s_and_b64 s[2:3], s[8:9], vcc
	s_and_saveexec_b64 s[10:11], s[2:3]
	s_cbranch_execz .LBB20_130
; %bb.85:
	s_cmp_eq_u64 s[20:21], 8
	v_cvt_f64_f32_e32 v[10:11], v36
	s_cselect_b64 vcc, -1, 0
	s_cmp_lg_u32 s30, 0
	v_mul_lo_u32 v3, v6, s29
	v_cndmask_b32_e32 v9, v11, v9, vcc
	v_cndmask_b32_e32 v8, v10, v8, vcc
	s_cselect_b64 s[12:13], -1, 0
	v_cmp_eq_u32_e64 s[2:3], 0, v0
	v_add3_u32 v7, v3, v0, 1
	s_lshl_b32 s31, s29, 6
	s_mov_b64 s[14:15], 0
	v_mov_b32_e32 v10, 0
	v_mov_b32_e32 v11, s17
	s_mov_b32 s48, 0xf800000
	v_mov_b32_e32 v30, 0x260
	s_mov_b64 s[20:21], s[6:7]
                                        ; implicit-def: $sgpr18_sgpr19
	s_branch .LBB20_87
.LBB20_86:                              ;   in Loop: Header=BB20_87 Depth=1
	s_or_b64 exec, exec, s[4:5]
	v_cmp_eq_u32_e32 vcc, s29, v15
	s_or_b64 s[14:15], vcc, s[14:15]
	s_andn2_b64 s[4:5], s[18:19], exec
	s_and_b64 s[18:19], s[20:21], exec
	s_or_b64 s[18:19], s[4:5], s[18:19]
	v_mov_b32_e32 v10, v15
	s_andn2_b64 exec, exec, s[14:15]
	s_cbranch_execz .LBB20_129
.LBB20_87:                              ; =>This Loop Header: Depth=1
                                        ;     Child Loop BB20_103 Depth 2
                                        ;       Child Loop BB20_113 Depth 3
	v_add_u32_e32 v12, v10, v3
	v_mul_lo_u32 v31, v12, s29
	v_add_u32_e32 v12, v31, v10
	v_ashrrev_i32_e32 v13, 31, v12
	v_lshlrev_b64 v[12:13], 3, v[12:13]
	v_add_co_u32_e32 v14, vcc, s16, v12
	v_addc_co_u32_e32 v15, vcc, v11, v13, vcc
	global_load_dwordx2 v[12:13], v[14:15], off
	s_and_b64 vcc, exec, s[0:1]
	s_cbranch_vccnz .LBB20_98
; %bb.88:                               ;   in Loop: Header=BB20_87 Depth=1
	s_waitcnt vmcnt(0)
	v_cmp_gt_f32_e32 vcc, 0, v12
	v_cndmask_b32_e64 v16, v12, -v12, vcc
	v_cmp_gt_f32_e32 vcc, 0, v13
	v_cndmask_b32_e64 v17, v13, -v13, vcc
	v_cmp_ngt_f32_e32 vcc, v16, v17
                                        ; implicit-def: $vgpr18
	s_and_saveexec_b64 s[4:5], vcc
	s_xor_b64 s[34:35], exec, s[4:5]
	s_cbranch_execz .LBB20_92
; %bb.89:                               ;   in Loop: Header=BB20_87 Depth=1
	v_cmp_neq_f32_e32 vcc, 0, v13
	v_mov_b32_e32 v18, 0
	s_and_saveexec_b64 s[36:37], vcc
	s_cbranch_execz .LBB20_91
; %bb.90:                               ;   in Loop: Header=BB20_87 Depth=1
	v_div_scale_f32 v18, s[4:5], v17, v17, v16
	v_rcp_f32_e32 v19, v18
	v_div_scale_f32 v20, vcc, v16, v17, v16
	v_fma_f32 v21, -v18, v19, 1.0
	v_fmac_f32_e32 v19, v21, v19
	v_mul_f32_e32 v21, v20, v19
	v_fma_f32 v22, -v18, v21, v20
	v_fmac_f32_e32 v21, v22, v19
	v_fma_f32 v18, -v18, v21, v20
	v_div_fmas_f32 v18, v18, v19, v21
	v_div_fixup_f32 v16, v18, v17, v16
	v_fma_f32 v16, v16, v16, 1.0
	v_mul_f32_e32 v18, 0x4f800000, v16
	v_cmp_gt_f32_e32 vcc, s48, v16
	v_cndmask_b32_e32 v16, v16, v18, vcc
	v_sqrt_f32_e32 v18, v16
	v_add_u32_e32 v19, -1, v18
	v_fma_f32 v20, -v19, v18, v16
	v_cmp_ge_f32_e64 s[4:5], 0, v20
	v_add_u32_e32 v20, 1, v18
	v_cndmask_b32_e64 v19, v18, v19, s[4:5]
	v_fma_f32 v18, -v20, v18, v16
	v_cmp_lt_f32_e64 s[4:5], 0, v18
	v_cndmask_b32_e64 v18, v19, v20, s[4:5]
	v_mul_f32_e32 v19, 0x37800000, v18
	v_cndmask_b32_e32 v18, v18, v19, vcc
	v_cmp_class_f32_e32 vcc, v16, v30
	v_cndmask_b32_e32 v16, v18, v16, vcc
	v_mul_f32_e32 v18, v17, v16
.LBB20_91:                              ;   in Loop: Header=BB20_87 Depth=1
	s_or_b64 exec, exec, s[36:37]
                                        ; implicit-def: $vgpr16
                                        ; implicit-def: $vgpr17
.LBB20_92:                              ;   in Loop: Header=BB20_87 Depth=1
	s_andn2_saveexec_b64 s[34:35], s[34:35]
	s_cbranch_execz .LBB20_94
; %bb.93:                               ;   in Loop: Header=BB20_87 Depth=1
	v_div_scale_f32 v18, s[4:5], v16, v16, v17
	v_rcp_f32_e32 v19, v18
	v_div_scale_f32 v20, vcc, v17, v16, v17
	v_fma_f32 v21, -v18, v19, 1.0
	v_fmac_f32_e32 v19, v21, v19
	v_mul_f32_e32 v21, v20, v19
	v_fma_f32 v22, -v18, v21, v20
	v_fmac_f32_e32 v21, v22, v19
	v_fma_f32 v18, -v18, v21, v20
	v_div_fmas_f32 v18, v18, v19, v21
	v_div_fixup_f32 v17, v18, v16, v17
	v_fma_f32 v17, v17, v17, 1.0
	v_mul_f32_e32 v18, 0x4f800000, v17
	v_cmp_gt_f32_e32 vcc, s48, v17
	v_cndmask_b32_e32 v17, v17, v18, vcc
	v_sqrt_f32_e32 v18, v17
	v_add_u32_e32 v19, -1, v18
	v_fma_f32 v20, -v19, v18, v17
	v_cmp_ge_f32_e64 s[4:5], 0, v20
	v_add_u32_e32 v20, 1, v18
	v_cndmask_b32_e64 v19, v18, v19, s[4:5]
	v_fma_f32 v18, -v20, v18, v17
	v_cmp_lt_f32_e64 s[4:5], 0, v18
	v_cndmask_b32_e64 v18, v19, v20, s[4:5]
	v_mul_f32_e32 v19, 0x37800000, v18
	v_cndmask_b32_e32 v18, v18, v19, vcc
	v_cmp_class_f32_e32 vcc, v17, v30
	v_cndmask_b32_e32 v17, v18, v17, vcc
	v_mul_f32_e32 v18, v16, v17
.LBB20_94:                              ;   in Loop: Header=BB20_87 Depth=1
	s_or_b64 exec, exec, s[34:35]
	v_cvt_f64_f32_e32 v[16:17], v18
	v_mov_b32_e32 v18, s60
	v_cmp_ge_f64_e32 vcc, v[8:9], v[16:17]
	v_mov_b32_e32 v16, s33
	v_cndmask_b32_e32 v17, v13, v18, vcc
	v_cndmask_b32_e32 v16, v12, v16, vcc
	s_and_saveexec_b64 s[4:5], s[2:3]
	s_cbranch_execz .LBB20_96
; %bb.95:                               ;   in Loop: Header=BB20_87 Depth=1
	global_store_dwordx2 v[14:15], v[16:17], off
.LBB20_96:                              ;   in Loop: Header=BB20_87 Depth=1
	s_or_b64 exec, exec, s[4:5]
	s_mov_b64 s[36:37], -1
	s_mov_b64 s[34:35], 0
.LBB20_97:                              ;   in Loop: Header=BB20_87 Depth=1
	s_waitcnt vmcnt(0)
	v_pk_mov_b32 v[12:13], v[16:17], v[16:17] op_sel:[0,1]
                                        ; implicit-def: $sgpr4_sgpr5
                                        ; implicit-def: $vgpr15
	s_and_saveexec_b64 s[38:39], s[36:37]
	s_xor_b64 s[36:37], exec, s[38:39]
	s_cbranch_execz .LBB20_127
	s_branch .LBB20_100
.LBB20_98:                              ;   in Loop: Header=BB20_87 Depth=1
	s_mov_b64 s[36:37], 0
                                        ; implicit-def: $vgpr16_vgpr17
	s_mov_b64 s[34:35], 0
	s_cbranch_execz .LBB20_97
; %bb.99:                               ;   in Loop: Header=BB20_87 Depth=1
	s_waitcnt vmcnt(0)
	v_cmp_neq_f32_e32 vcc, 0, v12
	v_cmp_neq_f32_e64 s[4:5], 0, v13
	s_or_b64 s[4:5], vcc, s[4:5]
	s_andn2_b64 s[36:37], s[36:37], exec
	s_and_b64 s[4:5], s[4:5], exec
	s_mov_b64 s[34:35], -1
	s_or_b64 s[36:37], s[36:37], s[4:5]
                                        ; implicit-def: $sgpr4_sgpr5
                                        ; implicit-def: $vgpr15
	s_and_saveexec_b64 s[38:39], s[36:37]
	s_xor_b64 s[36:37], exec, s[38:39]
	s_cbranch_execz .LBB20_127
.LBB20_100:                             ;   in Loop: Header=BB20_87 Depth=1
	v_add_u32_e32 v15, 1, v10
	v_add_u32_e32 v14, v15, v0
	v_cmp_gt_i32_e32 vcc, s29, v14
	s_and_saveexec_b64 s[38:39], vcc
	s_cbranch_execz .LBB20_126
; %bb.101:                              ;   in Loop: Header=BB20_87 Depth=1
	v_mul_f32_e32 v16, v13, v13
	v_fmac_f32_e32 v16, v12, v12
	v_div_scale_f32 v17, s[4:5], v16, v16, 1.0
	v_rcp_f32_e32 v18, v17
	v_div_scale_f32 v19, vcc, 1.0, v16, 1.0
	v_cmp_gt_i32_e64 s[4:5], s29, v15
	v_fma_f32 v20, -v17, v18, 1.0
	v_fmac_f32_e32 v18, v20, v18
	v_mul_f32_e32 v20, v19, v18
	v_fma_f32 v21, -v17, v20, v19
	v_fmac_f32_e32 v20, v21, v18
	v_fma_f32 v17, -v17, v20, v19
	v_div_fmas_f32 v17, v17, v18, v20
	v_div_fixup_f32 v16, v17, v16, 1.0
	v_add_u32_e32 v20, v7, v10
	v_mov_b32_e32 v17, v16
	v_mov_b32_e32 v18, v12
	;; [unrolled: 1-line block ×4, first 2 shown]
	v_mul_lo_u32 v32, s29, v20
	s_mov_b64 s[40:41], 0
	s_branch .LBB20_103
.LBB20_102:                             ;   in Loop: Header=BB20_103 Depth=2
	s_or_b64 exec, exec, s[42:43]
	v_add_u32_e32 v14, 64, v14
	v_cmp_le_i32_e32 vcc, s29, v14
	s_or_b64 s[40:41], vcc, s[40:41]
	v_add_u32_e32 v32, s31, v32
	s_andn2_b64 exec, exec, s[40:41]
	s_cbranch_execz .LBB20_126
.LBB20_103:                             ;   Parent Loop BB20_87 Depth=1
                                        ; =>  This Loop Header: Depth=2
                                        ;       Child Loop BB20_113 Depth 3
	s_and_b64 vcc, exec, s[12:13]
	v_add_u32_e32 v22, v14, v31
	s_cbranch_vccz .LBB20_124
; %bb.104:                              ;   in Loop: Header=BB20_103 Depth=2
	v_add_u32_e32 v20, v14, v31
	s_cbranch_execnz .LBB20_106
.LBB20_105:                             ;   in Loop: Header=BB20_103 Depth=2
	v_add_u32_e32 v20, v14, v3
	v_mad_u64_u32 v[20:21], s[42:43], v20, s29, v[10:11]
.LBB20_106:                             ;   in Loop: Header=BB20_103 Depth=2
	v_ashrrev_i32_e32 v21, 31, v20
	v_lshlrev_b64 v[20:21], 3, v[20:21]
	v_mov_b32_e32 v23, s17
	v_add_co_u32_e32 v20, vcc, s16, v20
	v_addc_co_u32_e32 v21, vcc, v23, v21, vcc
	global_load_dwordx2 v[20:21], v[20:21], off
	s_and_b64 vcc, exec, s[12:13]
	s_cbranch_vccz .LBB20_125
; %bb.107:                              ;   in Loop: Header=BB20_103 Depth=2
	s_cbranch_execnz .LBB20_109
.LBB20_108:                             ;   in Loop: Header=BB20_103 Depth=2
	v_add_u32_e32 v22, v14, v3
	v_mad_u64_u32 v[22:23], s[42:43], v22, s29, v[10:11]
.LBB20_109:                             ;   in Loop: Header=BB20_103 Depth=2
	v_ashrrev_i32_e32 v23, 31, v22
	s_waitcnt vmcnt(0)
	v_pk_mul_f32 v[24:25], v[12:13], v[20:21] op_sel:[0,1] op_sel_hi:[1,0] neg_hi:[0,1]
	v_lshlrev_b64 v[22:23], 3, v[22:23]
	v_pk_fma_f32 v[20:21], v[20:21], v[18:19], v[24:25]
	v_mov_b32_e32 v24, s17
	v_add_co_u32_e32 v22, vcc, s16, v22
	v_pk_mul_f32 v[20:21], v[16:17], v[20:21]
	v_addc_co_u32_e32 v23, vcc, v24, v23, vcc
	global_store_dwordx2 v[22:23], v[20:21], off
	s_and_saveexec_b64 s[42:43], s[4:5]
	s_cbranch_execz .LBB20_102
; %bb.110:                              ;   in Loop: Header=BB20_103 Depth=2
	v_xor_b32_e32 v23, 0x80000000, v20
	v_mov_b32_e32 v22, v21
	s_mov_b64 s[44:45], 0
	v_mov_b32_e32 v33, v15
	s_branch .LBB20_113
.LBB20_111:                             ;   in Loop: Header=BB20_113 Depth=3
	v_add_u32_e32 v28, v32, v33
.LBB20_112:                             ;   in Loop: Header=BB20_113 Depth=3
	s_waitcnt vmcnt(0)
	v_pk_fma_f32 v[26:27], v[20:21], v[24:25], v[26:27] op_sel_hi:[1,0,1] neg_lo:[1,0,0] neg_hi:[1,0,0]
	v_ashrrev_i32_e32 v29, 31, v28
	v_pk_fma_f32 v[24:25], v[22:23], v[24:25], v[26:27] op_sel:[0,1,0]
	v_lshlrev_b64 v[26:27], 3, v[28:29]
	v_mov_b32_e32 v28, s17
	v_add_co_u32_e32 v26, vcc, s16, v26
	v_addc_co_u32_e32 v27, vcc, v28, v27, vcc
	v_add_u32_e32 v33, 1, v33
	v_cmp_le_i32_e32 vcc, s29, v33
	s_or_b64 s[44:45], vcc, s[44:45]
	global_store_dwordx2 v[26:27], v[24:25], off
	s_andn2_b64 exec, exec, s[44:45]
	s_cbranch_execz .LBB20_102
.LBB20_113:                             ;   Parent Loop BB20_87 Depth=1
                                        ;     Parent Loop BB20_103 Depth=2
                                        ; =>    This Inner Loop Header: Depth=3
	s_and_b64 vcc, exec, s[12:13]
	v_add_u32_e32 v28, v33, v3
	s_cbranch_vccz .LBB20_121
; %bb.114:                              ;   in Loop: Header=BB20_113 Depth=3
	v_mad_u64_u32 v[24:25], s[46:47], v28, s29, v[10:11]
	s_cbranch_execnz .LBB20_116
.LBB20_115:                             ;   in Loop: Header=BB20_113 Depth=3
	v_add_u32_e32 v24, v31, v33
.LBB20_116:                             ;   in Loop: Header=BB20_113 Depth=3
	v_ashrrev_i32_e32 v25, 31, v24
	v_lshlrev_b64 v[24:25], 3, v[24:25]
	v_mov_b32_e32 v26, s17
	v_add_co_u32_e32 v24, vcc, s16, v24
	v_addc_co_u32_e32 v25, vcc, v26, v25, vcc
	global_load_dwordx2 v[24:25], v[24:25], off
	s_and_b64 vcc, exec, s[12:13]
	s_cbranch_vccz .LBB20_122
; %bb.117:                              ;   in Loop: Header=BB20_113 Depth=3
	v_mad_u64_u32 v[26:27], s[46:47], v28, s29, v[14:15]
	s_cbranch_execnz .LBB20_119
.LBB20_118:                             ;   in Loop: Header=BB20_113 Depth=3
	v_add_u32_e32 v26, v32, v33
.LBB20_119:                             ;   in Loop: Header=BB20_113 Depth=3
	v_ashrrev_i32_e32 v27, 31, v26
	v_lshlrev_b64 v[26:27], 3, v[26:27]
	v_mov_b32_e32 v29, s17
	v_add_co_u32_e32 v26, vcc, s16, v26
	v_addc_co_u32_e32 v27, vcc, v29, v27, vcc
	global_load_dwordx2 v[26:27], v[26:27], off
	s_and_b64 vcc, exec, s[12:13]
	s_cbranch_vccz .LBB20_123
; %bb.120:                              ;   in Loop: Header=BB20_113 Depth=3
	v_mad_u64_u32 v[28:29], s[46:47], v28, s29, v[14:15]
	s_cbranch_execnz .LBB20_112
	s_branch .LBB20_111
.LBB20_121:                             ;   in Loop: Header=BB20_113 Depth=3
                                        ; implicit-def: $vgpr24
	s_branch .LBB20_115
.LBB20_122:                             ;   in Loop: Header=BB20_113 Depth=3
                                        ; implicit-def: $vgpr26
	s_branch .LBB20_118
.LBB20_123:                             ;   in Loop: Header=BB20_113 Depth=3
                                        ; implicit-def: $vgpr28
	s_branch .LBB20_111
.LBB20_124:                             ;   in Loop: Header=BB20_103 Depth=2
                                        ; implicit-def: $vgpr20
	s_branch .LBB20_105
.LBB20_125:                             ;   in Loop: Header=BB20_103 Depth=2
                                        ; implicit-def: $vgpr22
	s_branch .LBB20_108
.LBB20_126:                             ;   in Loop: Header=BB20_87 Depth=1
	s_or_b64 exec, exec, s[38:39]
	s_and_b64 s[4:5], s[20:21], exec
	s_andn2_b64 s[34:35], s[34:35], exec
.LBB20_127:                             ;   in Loop: Header=BB20_87 Depth=1
	s_or_b64 exec, exec, s[36:37]
	s_andn2_b64 s[20:21], s[20:21], exec
	s_and_b64 s[4:5], s[4:5], exec
	s_or_b64 s[20:21], s[20:21], s[4:5]
	s_and_saveexec_b64 s[4:5], s[34:35]
	s_cbranch_execz .LBB20_86
; %bb.128:                              ;   in Loop: Header=BB20_87 Depth=1
	v_add_u32_e32 v15, 1, v10
	s_or_b64 s[20:21], s[20:21], exec
	s_branch .LBB20_86
.LBB20_129:
	s_or_b64 exec, exec, s[14:15]
	s_andn2_b64 s[0:1], s[6:7], exec
	s_and_b64 s[2:3], s[18:19], exec
	s_or_b64 s[6:7], s[0:1], s[2:3]
.LBB20_130:
	s_or_b64 exec, exec, s[10:11]
	v_add_u32_e32 v3, 1, v6
	v_cmp_lt_i32_e32 vcc, v3, v1
	s_and_saveexec_b64 s[10:11], vcc
	s_cbranch_execz .LBB20_154
; %bb.131:
	v_mul_lo_u32 v14, v6, s29
	v_mul_lo_u32 v6, s29, v14
	s_mul_i32 s31, s29, s29
	v_add_u32_e32 v15, s29, v6
	v_mul_lo_u32 v6, s31, v3
	s_cmp_lg_u32 s30, 0
	v_add3_u32 v16, v6, s29, v0
	v_cndmask_b32_e64 v6, 0, 1, s[8:9]
	v_cmp_gt_i32_e64 s[0:1], s29, v0
	s_cselect_b64 s[12:13], -1, 0
	s_add_i32 s30, s29, 1
	s_mov_b64 s[14:15], 0
	v_cmp_ne_u32_e64 s[2:3], 1, v6
	s_branch .LBB20_133
.LBB20_132:                             ;   in Loop: Header=BB20_133 Depth=1
	v_add_u32_e32 v3, 1, v3
	v_cmp_ge_i32_e32 vcc, v3, v1
	s_or_b64 s[14:15], vcc, s[14:15]
	v_add_u32_e32 v16, s31, v16
	s_andn2_b64 exec, exec, s[14:15]
	s_cbranch_execz .LBB20_154
.LBB20_133:                             ; =>This Loop Header: Depth=1
                                        ;     Child Loop BB20_136 Depth 2
                                        ;       Child Loop BB20_139 Depth 3
                                        ;         Child Loop BB20_143 Depth 4
	s_and_b64 vcc, exec, s[2:3]
	s_cbranch_vccnz .LBB20_132
; %bb.134:                              ;   in Loop: Header=BB20_133 Depth=1
	v_mul_lo_u32 v17, v3, s29
	s_mov_b32 s33, 0
	v_mov_b32_e32 v18, v16
	v_mov_b32_e32 v19, v15
	s_branch .LBB20_136
.LBB20_135:                             ;   in Loop: Header=BB20_136 Depth=2
	s_or_b64 exec, exec, s[8:9]
	v_add_u32_e32 v19, s30, v19
	v_add_u32_e32 v18, s29, v18
	s_cmp_eq_u32 s34, s29
	s_mov_b32 s33, s34
	s_cbranch_scc1 .LBB20_132
.LBB20_136:                             ;   Parent Loop BB20_133 Depth=1
                                        ; =>  This Loop Header: Depth=2
                                        ;       Child Loop BB20_139 Depth 3
                                        ;         Child Loop BB20_143 Depth 4
	s_add_i32 s34, s33, 1
	s_and_saveexec_b64 s[8:9], s[0:1]
	s_cbranch_execz .LBB20_135
; %bb.137:                              ;   in Loop: Header=BB20_136 Depth=2
	s_cmp_lt_i32 s34, s29
	v_add_u32_e32 v6, s33, v14
	v_mul_lo_u32 v20, v6, s29
	v_add_u32_e32 v6, s33, v17
	s_cselect_b64 s[4:5], -1, 0
	v_mul_lo_u32 v21, v6, s29
	v_cndmask_b32_e64 v6, 0, 1, s[4:5]
	s_mov_b64 s[18:19], 0
	v_cmp_ne_u32_e64 s[4:5], 1, v6
	v_mov_b32_e32 v22, v18
	v_mov_b32_e32 v23, v0
	s_branch .LBB20_139
.LBB20_138:                             ;   in Loop: Header=BB20_139 Depth=3
	v_add_u32_e32 v23, 64, v23
	v_cmp_le_i32_e32 vcc, s29, v23
	s_or_b64 s[18:19], vcc, s[18:19]
	v_add_u32_e32 v22, 64, v22
	s_andn2_b64 exec, exec, s[18:19]
	s_cbranch_execz .LBB20_135
.LBB20_139:                             ;   Parent Loop BB20_133 Depth=1
                                        ;     Parent Loop BB20_136 Depth=2
                                        ; =>    This Loop Header: Depth=3
                                        ;         Child Loop BB20_143 Depth 4
	s_and_b64 vcc, exec, s[4:5]
	s_cbranch_vccnz .LBB20_138
; %bb.140:                              ;   in Loop: Header=BB20_139 Depth=3
	v_add_u32_e32 v6, v23, v17
	v_mul_lo_u32 v24, v6, s29
	v_add_u32_e32 v25, s33, v24
	v_add_u32_e32 v26, v23, v21
	s_mov_b32 s35, 0
	s_mov_b32 s36, s34
	s_branch .LBB20_143
.LBB20_141:                             ;   in Loop: Header=BB20_143 Depth=4
	v_mov_b32_e32 v10, v11
.LBB20_142:                             ;   in Loop: Header=BB20_143 Depth=4
	s_waitcnt vmcnt(0)
	v_pk_fma_f32 v[12:13], v[6:7], v[8:9], v[12:13] op_sel_hi:[1,0,1] neg_lo:[1,0,0] neg_hi:[1,0,0]
	v_ashrrev_i32_e32 v11, 31, v10
	v_pk_fma_f32 v[6:7], v[6:7], v[8:9], v[12:13] op_sel:[1,1,0] op_sel_hi:[0,1,1] neg_hi:[1,0,0]
	v_lshlrev_b64 v[8:9], 3, v[10:11]
	v_mov_b32_e32 v10, s17
	v_add_co_u32_e32 v8, vcc, s16, v8
	s_add_i32 s36, s36, 1
	s_add_i32 s35, s35, s29
	v_addc_co_u32_e32 v9, vcc, v10, v9, vcc
	s_cmp_ge_i32 s36, s29
	global_store_dwordx2 v[8:9], v[6:7], off
	s_cbranch_scc1 .LBB20_138
.LBB20_143:                             ;   Parent Loop BB20_133 Depth=1
                                        ;     Parent Loop BB20_136 Depth=2
                                        ;       Parent Loop BB20_139 Depth=3
                                        ; =>      This Inner Loop Header: Depth=4
	s_and_b64 vcc, exec, s[12:13]
	s_cbranch_vccz .LBB20_151
; %bb.144:                              ;   in Loop: Header=BB20_143 Depth=4
	v_add_u32_e32 v6, s36, v20
	v_mov_b32_e32 v8, v25
	s_cbranch_execnz .LBB20_146
.LBB20_145:                             ;   in Loop: Header=BB20_143 Depth=4
	v_add_u32_e32 v6, s35, v19
	v_mov_b32_e32 v8, v26
.LBB20_146:                             ;   in Loop: Header=BB20_143 Depth=4
	v_ashrrev_i32_e32 v7, 31, v6
	v_lshlrev_b64 v[6:7], 3, v[6:7]
	v_mov_b32_e32 v9, s17
	v_add_co_u32_e32 v10, vcc, s16, v6
	v_addc_co_u32_e32 v11, vcc, v9, v7, vcc
	v_ashrrev_i32_e32 v9, 31, v8
	v_lshlrev_b64 v[6:7], 3, v[8:9]
	v_mov_b32_e32 v8, s17
	v_add_co_u32_e32 v12, vcc, s16, v6
	v_addc_co_u32_e32 v13, vcc, v8, v7, vcc
	global_load_dwordx2 v[6:7], v[10:11], off
	global_load_dwordx2 v[8:9], v[12:13], off
	s_and_b64 vcc, exec, s[12:13]
	v_add_u32_e32 v10, s36, v24
	s_cbranch_vccz .LBB20_152
; %bb.147:                              ;   in Loop: Header=BB20_143 Depth=4
	v_add_u32_e32 v12, s36, v24
	v_add_u32_e32 v11, s35, v22
	s_cbranch_execnz .LBB20_149
.LBB20_148:                             ;   in Loop: Header=BB20_143 Depth=4
	v_add_u32_e32 v12, s35, v22
.LBB20_149:                             ;   in Loop: Header=BB20_143 Depth=4
	v_ashrrev_i32_e32 v13, 31, v12
	v_lshlrev_b64 v[12:13], 3, v[12:13]
	v_mov_b32_e32 v27, s17
	v_add_co_u32_e32 v12, vcc, s16, v12
	v_addc_co_u32_e32 v13, vcc, v27, v13, vcc
	global_load_dwordx2 v[12:13], v[12:13], off
	s_and_b64 vcc, exec, s[12:13]
	s_cbranch_vccz .LBB20_153
; %bb.150:                              ;   in Loop: Header=BB20_143 Depth=4
	s_cbranch_execnz .LBB20_142
	s_branch .LBB20_141
.LBB20_151:                             ;   in Loop: Header=BB20_143 Depth=4
                                        ; implicit-def: $vgpr6
	v_mov_b32_e32 v8, v25
	s_branch .LBB20_145
.LBB20_152:                             ;   in Loop: Header=BB20_143 Depth=4
                                        ; implicit-def: $vgpr12
	v_add_u32_e32 v11, s35, v22
	s_branch .LBB20_148
.LBB20_153:                             ;   in Loop: Header=BB20_143 Depth=4
                                        ; implicit-def: $vgpr10
	s_branch .LBB20_141
.LBB20_154:
	s_or_b64 exec, exec, s[10:11]
	s_orn2_b64 s[2:3], s[6:7], exec
.LBB20_155:
	s_or_b64 exec, exec, s[26:27]
	v_cmp_eq_u32_e32 vcc, 0, v0
	s_and_b64 exec, exec, vcc
	s_cbranch_execz .LBB20_161
; %bb.156:
	v_mov_b32_e32 v1, s25
	v_add_co_u32_e32 v0, vcc, s24, v4
	v_addc_co_u32_e32 v1, vcc, v1, v5, vcc
	v_mov_b32_e32 v3, 1
	s_waitcnt vmcnt(0)
	global_store_dword v[0:1], v3, off
	s_and_b64 exec, exec, s[2:3]
	s_cbranch_execz .LBB20_161
; %bb.157:
	s_mov_b64 s[0:1], exec
	v_add_u32_e32 v0, s28, v2
	s_brev_b32 s2, -2
.LBB20_158:                             ; =>This Inner Loop Header: Depth=1
	s_ff1_i32_b64 s3, s[0:1]
	v_readlane_b32 s6, v0, s3
	s_lshl_b64 s[4:5], 1, s3
	s_min_i32 s2, s2, s6
	s_andn2_b64 s[0:1], s[0:1], s[4:5]
	s_cmp_lg_u64 s[0:1], 0
	s_cbranch_scc1 .LBB20_158
; %bb.159:
	v_mbcnt_lo_u32_b32 v0, exec_lo, 0
	v_mbcnt_hi_u32_b32 v0, exec_hi, v0
	v_cmp_eq_u32_e32 vcc, 0, v0
	s_and_saveexec_b64 s[0:1], vcc
	s_xor_b64 s[0:1], exec, s[0:1]
	s_cbranch_execz .LBB20_161
; %bb.160:
	v_mov_b32_e32 v0, 0
	v_mov_b32_e32 v1, s2
	global_atomic_smin v0, v1, s[22:23]
.LBB20_161:
	s_endpgm
	.section	.rodata,"a",@progbits
	.p2align	6, 0x0
	.amdhsa_kernel _ZN9rocsparseL15bsrilu0_generalILj128ELj64ELb0E21rocsparse_complex_numIfEEEv20rocsparse_direction_iPKiS5_PT2_S5_iPiS5_S8_21rocsparse_index_base_imNS_24const_host_device_scalarIfEENSA_IdEENSA_IS6_EEb
		.amdhsa_group_segment_fixed_size 0
		.amdhsa_private_segment_fixed_size 0
		.amdhsa_kernarg_size 116
		.amdhsa_user_sgpr_count 6
		.amdhsa_user_sgpr_private_segment_buffer 1
		.amdhsa_user_sgpr_dispatch_ptr 0
		.amdhsa_user_sgpr_queue_ptr 0
		.amdhsa_user_sgpr_kernarg_segment_ptr 1
		.amdhsa_user_sgpr_dispatch_id 0
		.amdhsa_user_sgpr_flat_scratch_init 0
		.amdhsa_user_sgpr_kernarg_preload_length 0
		.amdhsa_user_sgpr_kernarg_preload_offset 0
		.amdhsa_user_sgpr_private_segment_size 0
		.amdhsa_uses_dynamic_stack 0
		.amdhsa_system_sgpr_private_segment_wavefront_offset 0
		.amdhsa_system_sgpr_workgroup_id_x 1
		.amdhsa_system_sgpr_workgroup_id_y 0
		.amdhsa_system_sgpr_workgroup_id_z 0
		.amdhsa_system_sgpr_workgroup_info 0
		.amdhsa_system_vgpr_workitem_id 0
		.amdhsa_next_free_vgpr 45
		.amdhsa_next_free_sgpr 67
		.amdhsa_accum_offset 48
		.amdhsa_reserve_vcc 1
		.amdhsa_reserve_flat_scratch 0
		.amdhsa_float_round_mode_32 0
		.amdhsa_float_round_mode_16_64 0
		.amdhsa_float_denorm_mode_32 3
		.amdhsa_float_denorm_mode_16_64 3
		.amdhsa_dx10_clamp 1
		.amdhsa_ieee_mode 1
		.amdhsa_fp16_overflow 0
		.amdhsa_tg_split 0
		.amdhsa_exception_fp_ieee_invalid_op 0
		.amdhsa_exception_fp_denorm_src 0
		.amdhsa_exception_fp_ieee_div_zero 0
		.amdhsa_exception_fp_ieee_overflow 0
		.amdhsa_exception_fp_ieee_underflow 0
		.amdhsa_exception_fp_ieee_inexact 0
		.amdhsa_exception_int_div_zero 0
	.end_amdhsa_kernel
	.section	.text._ZN9rocsparseL15bsrilu0_generalILj128ELj64ELb0E21rocsparse_complex_numIfEEEv20rocsparse_direction_iPKiS5_PT2_S5_iPiS5_S8_21rocsparse_index_base_imNS_24const_host_device_scalarIfEENSA_IdEENSA_IS6_EEb,"axG",@progbits,_ZN9rocsparseL15bsrilu0_generalILj128ELj64ELb0E21rocsparse_complex_numIfEEEv20rocsparse_direction_iPKiS5_PT2_S5_iPiS5_S8_21rocsparse_index_base_imNS_24const_host_device_scalarIfEENSA_IdEENSA_IS6_EEb,comdat
.Lfunc_end20:
	.size	_ZN9rocsparseL15bsrilu0_generalILj128ELj64ELb0E21rocsparse_complex_numIfEEEv20rocsparse_direction_iPKiS5_PT2_S5_iPiS5_S8_21rocsparse_index_base_imNS_24const_host_device_scalarIfEENSA_IdEENSA_IS6_EEb, .Lfunc_end20-_ZN9rocsparseL15bsrilu0_generalILj128ELj64ELb0E21rocsparse_complex_numIfEEEv20rocsparse_direction_iPKiS5_PT2_S5_iPiS5_S8_21rocsparse_index_base_imNS_24const_host_device_scalarIfEENSA_IdEENSA_IS6_EEb
                                        ; -- End function
	.section	.AMDGPU.csdata,"",@progbits
; Kernel info:
; codeLenInByte = 4528
; NumSgprs: 71
; NumVgprs: 45
; NumAgprs: 0
; TotalNumVgprs: 45
; ScratchSize: 0
; MemoryBound: 0
; FloatMode: 240
; IeeeMode: 1
; LDSByteSize: 0 bytes/workgroup (compile time only)
; SGPRBlocks: 8
; VGPRBlocks: 5
; NumSGPRsForWavesPerEU: 71
; NumVGPRsForWavesPerEU: 45
; AccumOffset: 48
; Occupancy: 8
; WaveLimiterHint : 1
; COMPUTE_PGM_RSRC2:SCRATCH_EN: 0
; COMPUTE_PGM_RSRC2:USER_SGPR: 6
; COMPUTE_PGM_RSRC2:TRAP_HANDLER: 0
; COMPUTE_PGM_RSRC2:TGID_X_EN: 1
; COMPUTE_PGM_RSRC2:TGID_Y_EN: 0
; COMPUTE_PGM_RSRC2:TGID_Z_EN: 0
; COMPUTE_PGM_RSRC2:TIDIG_COMP_CNT: 0
; COMPUTE_PGM_RSRC3_GFX90A:ACCUM_OFFSET: 11
; COMPUTE_PGM_RSRC3_GFX90A:TG_SPLIT: 0
	.section	.text._ZN9rocsparseL15bsrilu0_generalILj128ELj64ELb1E21rocsparse_complex_numIdEEEv20rocsparse_direction_iPKiS5_PT2_S5_iPiS5_S8_21rocsparse_index_base_imNS_24const_host_device_scalarIfEENSA_IdEENSA_IS6_EEb,"axG",@progbits,_ZN9rocsparseL15bsrilu0_generalILj128ELj64ELb1E21rocsparse_complex_numIdEEEv20rocsparse_direction_iPKiS5_PT2_S5_iPiS5_S8_21rocsparse_index_base_imNS_24const_host_device_scalarIfEENSA_IdEENSA_IS6_EEb,comdat
	.globl	_ZN9rocsparseL15bsrilu0_generalILj128ELj64ELb1E21rocsparse_complex_numIdEEEv20rocsparse_direction_iPKiS5_PT2_S5_iPiS5_S8_21rocsparse_index_base_imNS_24const_host_device_scalarIfEENSA_IdEENSA_IS6_EEb ; -- Begin function _ZN9rocsparseL15bsrilu0_generalILj128ELj64ELb1E21rocsparse_complex_numIdEEEv20rocsparse_direction_iPKiS5_PT2_S5_iPiS5_S8_21rocsparse_index_base_imNS_24const_host_device_scalarIfEENSA_IdEENSA_IS6_EEb
	.p2align	8
	.type	_ZN9rocsparseL15bsrilu0_generalILj128ELj64ELb1E21rocsparse_complex_numIdEEEv20rocsparse_direction_iPKiS5_PT2_S5_iPiS5_S8_21rocsparse_index_base_imNS_24const_host_device_scalarIfEENSA_IdEENSA_IS6_EEb,@function
_ZN9rocsparseL15bsrilu0_generalILj128ELj64ELb1E21rocsparse_complex_numIdEEEv20rocsparse_direction_iPKiS5_PT2_S5_iPiS5_S8_21rocsparse_index_base_imNS_24const_host_device_scalarIfEENSA_IdEENSA_IS6_EEb: ; @_ZN9rocsparseL15bsrilu0_generalILj128ELj64ELb1E21rocsparse_complex_numIdEEEv20rocsparse_direction_iPKiS5_PT2_S5_iPiS5_S8_21rocsparse_index_base_imNS_24const_host_device_scalarIfEENSA_IdEENSA_IS6_EEb
; %bb.0:
	s_add_u32 flat_scratch_lo, s6, s9
	s_load_dword s6, s[4:5], 0x78
	s_load_dwordx8 s[36:43], s[4:5], 0x50
	s_load_dwordx2 s[10:11], s[4:5], 0x70
	s_load_dwordx2 s[18:19], s[4:5], 0x48
	s_addc_u32 flat_scratch_hi, s7, 0
	s_add_u32 s0, s0, s9
	s_addc_u32 s1, s1, 0
	s_waitcnt lgkmcnt(0)
	s_bitcmp1_b32 s6, 0
	s_cselect_b64 s[6:7], -1, 0
	s_cmp_lg_u32 s19, 0
	s_cselect_b64 s[12:13], -1, 0
	s_cmp_eq_u32 s19, 0
	s_cselect_b64 s[20:21], -1, 0
	s_and_b64 s[14:15], s[20:21], exec
	v_mov_b32_e32 v1, s42
	s_cselect_b32 s16, 0, s40
	s_cselect_b32 s17, 0, s41
	s_or_b64 s[22:23], s[20:21], s[6:7]
	buffer_store_dword v1, off, s[0:3], 0 offset:32
	v_mov_b32_e32 v1, s43
	s_xor_b64 s[14:15], s[22:23], -1
	s_and_b64 vcc, exec, s[22:23]
	buffer_store_dword v1, off, s[0:3], 0 offset:36
	s_cbranch_vccnz .LBB21_2
; %bb.1:
	s_load_dword s9, s[38:39], 0x0
	s_mov_b64 s[16:17], s[40:41]
	s_waitcnt lgkmcnt(0)
	v_mov_b32_e32 v21, s9
	s_andn2_b64 vcc, exec, s[14:15]
	v_pk_mov_b32 v[24:25], s[16:17], s[16:17] op_sel:[0,1]
	s_cbranch_vccz .LBB21_3
	s_branch .LBB21_4
.LBB21_2:
	v_mov_b32_e32 v1, s38
	v_cndmask_b32_e64 v21, v1, 0, s[20:21]
	s_andn2_b64 vcc, exec, s[14:15]
	v_pk_mov_b32 v[24:25], s[16:17], s[16:17] op_sel:[0,1]
	s_cbranch_vccnz .LBB21_4
.LBB21_3:
	v_pk_mov_b32 v[2:3], s[40:41], s[40:41] op_sel:[0,1]
	flat_load_dwordx2 v[24:25], v[2:3]
.LBB21_4:
	v_cndmask_b32_e64 v1, 0, 1, s[12:13]
	v_pk_mov_b32 v[2:3], 0, 0
	v_cmp_ne_u32_e64 s[16:17], 1, v1
	s_andn2_b64 vcc, exec, s[12:13]
	v_pk_mov_b32 v[4:5], v[2:3], v[2:3] op_sel:[0,1]
	s_cbranch_vccnz .LBB21_7
; %bb.5:
	s_xor_b64 s[14:15], s[6:7], -1
	s_mov_b64 s[12:13], src_private_base
	s_and_b64 s[20:21], s[6:7], exec
	s_cselect_b32 s9, s13, s43
	v_mov_b32_e32 v1, 32
	v_mov_b32_e32 v2, s42
	v_cndmask_b32_e64 v2, v2, v1, s[6:7]
	v_mov_b32_e32 v3, s9
	flat_load_dwordx2 v[2:3], v[2:3]
	s_andn2_b64 vcc, exec, s[14:15]
	v_pk_mov_b32 v[4:5], s[10:11], s[10:11] op_sel:[0,1]
	s_cbranch_vccnz .LBB21_7
; %bb.6:
	v_pk_mov_b32 v[4:5], s[42:43], s[42:43] op_sel:[0,1]
	flat_load_dwordx2 v[4:5], v[4:5] offset:8
.LBB21_7:
	s_load_dwordx2 s[38:39], s[4:5], 0x0
	s_lshl_b32 s6, s8, 1
	v_lshrrev_b32_e32 v1, 6, v0
	s_and_b32 s6, s6, 0x3fffffe
	v_or_b32_e32 v1, s6, v1
	s_waitcnt lgkmcnt(0)
	v_cmp_gt_i32_e32 vcc, s39, v1
	s_waitcnt vmcnt(0)
	buffer_store_dword v3, off, s[0:3], 0 offset:4
	buffer_store_dword v2, off, s[0:3], 0
	buffer_store_dword v5, off, s[0:3], 0 offset:12
	buffer_store_dword v4, off, s[0:3], 0 offset:8
	s_and_saveexec_b64 s[6:7], vcc
	s_cbranch_execz .LBB21_160
; %bb.8:
	s_load_dwordx4 s[28:31], s[4:5], 0x30
	s_load_dwordx2 s[34:35], s[4:5], 0x40
	v_lshlrev_b32_e32 v1, 2, v1
	s_load_dwordx8 s[20:27], s[4:5], 0x8
	v_and_b32_e32 v20, 63, v0
	s_waitcnt lgkmcnt(0)
	global_load_dword v16, v1, s[30:31]
	s_mov_b64 s[6:7], -1
	v_mov_b32_e32 v1, s27
	s_waitcnt vmcnt(0)
	v_ashrrev_i32_e32 v17, 31, v16
	v_lshlrev_b64 v[18:19], 2, v[16:17]
	v_add_co_u32_e32 v2, vcc, s26, v18
	v_addc_co_u32_e32 v3, vcc, v1, v19, vcc
	global_load_dword v22, v[2:3], off
	s_waitcnt vmcnt(0)
	v_cmp_ne_u32_e32 vcc, -1, v22
	s_and_saveexec_b64 s[30:31], vcc
	s_cbranch_execz .LBB21_154
; %bb.9:
	v_mov_b32_e32 v1, s21
	v_add_co_u32_e32 v0, vcc, s20, v18
	v_addc_co_u32_e32 v1, vcc, v1, v19, vcc
	global_load_dwordx2 v[0:1], v[0:1], off
	s_load_dword s19, s[4:5], 0x28
	s_mov_b64 s[10:11], 0
	s_waitcnt vmcnt(0)
	v_subrev_u32_e32 v26, s18, v0
	v_subrev_u32_e32 v17, s18, v1
	v_cmp_lt_i32_e32 vcc, v26, v22
	s_and_saveexec_b64 s[4:5], vcc
	s_cbranch_execz .LBB21_83
; %bb.10:
	s_waitcnt lgkmcnt(0)
	s_cmp_gt_i32 s19, 0
	v_add_u32_e32 v28, v26, v20
	s_cselect_b64 s[40:41], -1, 0
	s_cmp_lg_u32 s38, 0
	v_ashrrev_i32_e32 v29, 31, v28
	s_cselect_b64 s[42:43], -1, 0
	s_add_i32 s33, s39, 1
	v_lshlrev_b64 v[0:1], 2, v[28:29]
	v_mov_b32_e32 v23, s23
	v_add_co_u32_e32 v30, vcc, s22, v0
	s_add_u32 s39, s20, 4
	v_addc_co_u32_e32 v31, vcc, v23, v1, vcc
	s_addc_u32 s64, s21, 0
	v_mad_u64_u32 v[0:1], s[12:13], s19, v26, v[20:21]
	s_add_u32 s65, s22, 0x100
	v_mul_lo_u32 v29, s19, v0
	v_mbcnt_lo_u32_b32 v0, -1, 0
	v_cmp_gt_i32_e64 s[6:7], s19, v20
	v_cmp_le_i32_e64 s[8:9], s19, v20
	v_cmp_lt_i32_e64 s[10:11], v28, v17
	s_addc_u32 s66, s23, 0
	s_mul_i32 s67, s19, s19
	s_lshl_b32 s68, s19, 6
	s_mov_b64 s[48:49], 0
	s_mov_b64 s[20:21], 0
	v_mov_b32_e32 v33, s27
	v_mbcnt_hi_u32_b32 v37, -1, v0
                                        ; implicit-def: $sgpr44_sgpr45
                                        ; implicit-def: $sgpr46_sgpr47
	s_branch .LBB21_13
.LBB21_11:                              ;   in Loop: Header=BB21_13 Depth=1
	s_or_b64 exec, exec, s[14:15]
	s_andn2_b64 s[14:15], s[46:47], exec
	s_and_b64 s[46:47], s[48:49], exec
	s_or_b64 s[46:47], s[14:15], s[46:47]
.LBB21_12:                              ;   in Loop: Header=BB21_13 Depth=1
	s_or_b64 exec, exec, s[50:51]
	v_add_u32_e32 v26, 1, v26
	v_cmp_ge_i32_e32 vcc, v26, v22
	s_xor_b64 s[12:13], s[12:13], -1
	s_or_b64 s[12:13], s[12:13], vcc
	s_and_b64 s[12:13], exec, s[12:13]
	s_or_b64 s[20:21], s[12:13], s[20:21]
	s_andn2_b64 s[12:13], s[44:45], exec
	s_and_b64 s[14:15], s[46:47], exec
	v_add_u32_e32 v29, s67, v29
	s_or_b64 s[44:45], s[12:13], s[14:15]
	s_mov_b64 s[48:49], s[46:47]
	s_andn2_b64 exec, exec, s[20:21]
	s_cbranch_execz .LBB21_82
.LBB21_13:                              ; =>This Loop Header: Depth=1
                                        ;     Child Loop BB21_17 Depth 2
                                        ;       Child Loop BB21_18 Depth 3
                                        ;     Child Loop BB21_23 Depth 2
                                        ;       Child Loop BB21_28 Depth 3
                                        ;         Child Loop BB21_38 Depth 4
                                        ;     Child Loop BB21_56 Depth 2
                                        ;       Child Loop BB21_61 Depth 3
                                        ;       Child Loop BB21_68 Depth 3
                                        ;         Child Loop BB21_71 Depth 4
                                        ;           Child Loop BB21_73 Depth 5
	v_ashrrev_i32_e32 v27, 31, v26
	s_waitcnt lgkmcnt(0)
	v_lshlrev_b64 v[0:1], 2, v[26:27]
	v_add_co_u32_e32 v0, vcc, s22, v0
	v_addc_co_u32_e32 v1, vcc, v23, v1, vcc
	global_load_dword v0, v[0:1], off
	s_or_b64 s[46:47], s[46:47], exec
	s_waitcnt vmcnt(0)
	v_subrev_u32_e32 v0, s18, v0
	v_ashrrev_i32_e32 v1, 31, v0
	v_lshlrev_b64 v[0:1], 2, v[0:1]
	v_add_co_u32_e32 v2, vcc, s26, v0
	v_addc_co_u32_e32 v3, vcc, v33, v1, vcc
	global_load_dword v40, v[2:3], off
	s_waitcnt vmcnt(0)
	v_cmp_ne_u32_e64 s[12:13], -1, v40
	s_and_saveexec_b64 s[50:51], s[12:13]
	s_cbranch_execz .LBB21_12
; %bb.14:                               ;   in Loop: Header=BB21_13 Depth=1
	v_mov_b32_e32 v3, s64
	v_add_co_u32_e32 v2, vcc, s39, v0
	v_addc_co_u32_e32 v3, vcc, v3, v1, vcc
	global_load_dword v41, v[2:3], off
	v_mov_b32_e32 v2, s29
	v_add_co_u32_e32 v0, vcc, s28, v0
	v_addc_co_u32_e32 v1, vcc, v2, v1, vcc
	global_load_dword v2, v[0:1], off glc
	s_waitcnt vmcnt(0)
	v_cmp_eq_u32_e32 vcc, 0, v2
	s_and_saveexec_b64 s[14:15], vcc
	s_cbranch_execz .LBB21_19
; %bb.15:                               ;   in Loop: Header=BB21_13 Depth=1
	s_mov_b32 s27, 0
	s_mov_b64 s[52:53], 0
	s_branch .LBB21_17
.LBB21_16:                              ;   in Loop: Header=BB21_17 Depth=2
	global_load_dword v2, v[0:1], off glc
	s_cmpk_lt_u32 s27, 0xf43
	s_cselect_b64 s[54:55], -1, 0
	s_cmp_lg_u64 s[54:55], 0
	s_addc_u32 s27, s27, 0
	s_waitcnt vmcnt(0)
	v_cmp_ne_u32_e32 vcc, 0, v2
	s_or_b64 s[52:53], vcc, s[52:53]
	s_andn2_b64 exec, exec, s[52:53]
	s_cbranch_execz .LBB21_19
.LBB21_17:                              ;   Parent Loop BB21_13 Depth=1
                                        ; =>  This Loop Header: Depth=2
                                        ;       Child Loop BB21_18 Depth 3
	s_cmp_eq_u32 s27, 0
	s_mov_b32 s54, s27
	s_cbranch_scc1 .LBB21_16
.LBB21_18:                              ;   Parent Loop BB21_13 Depth=1
                                        ;     Parent Loop BB21_17 Depth=2
                                        ; =>    This Inner Loop Header: Depth=3
	s_add_i32 s54, s54, -1
	s_cmp_eq_u32 s54, 0
	s_sleep 1
	s_cbranch_scc0 .LBB21_18
	s_branch .LBB21_16
.LBB21_19:                              ;   in Loop: Header=BB21_13 Depth=1
	s_or_b64 exec, exec, s[14:15]
	s_andn2_b64 vcc, exec, s[40:41]
	v_mul_lo_u32 v27, v26, s19
	buffer_wbinvl1_vol
	s_cbranch_vccnz .LBB21_52
; %bb.20:                               ;   in Loop: Header=BB21_13 Depth=1
	v_mul_lo_u32 v42, v40, s19
	s_mov_b64 s[52:53], 0
	v_mov_b32_e32 v32, 0
	s_branch .LBB21_23
.LBB21_21:                              ;   in Loop: Header=BB21_23 Depth=2
	s_or_b64 exec, exec, s[56:57]
	v_mov_b32_e32 v32, v43
.LBB21_22:                              ;   in Loop: Header=BB21_23 Depth=2
	s_or_b64 exec, exec, s[54:55]
	v_cmp_eq_u32_e32 vcc, s19, v32
	s_or_b64 s[52:53], vcc, s[52:53]
	s_andn2_b64 exec, exec, s[52:53]
	s_cbranch_execz .LBB21_51
.LBB21_23:                              ;   Parent Loop BB21_13 Depth=1
                                        ; =>  This Loop Header: Depth=2
                                        ;       Child Loop BB21_28 Depth 3
                                        ;         Child Loop BB21_38 Depth 4
	v_add_u32_e32 v43, 1, v32
	s_and_saveexec_b64 s[14:15], s[8:9]
	s_xor_b64 s[14:15], exec, s[14:15]
; %bb.24:                               ;   in Loop: Header=BB21_23 Depth=2
	v_add_u32_e32 v32, 1, v32
                                        ; implicit-def: $vgpr43
; %bb.25:                               ;   in Loop: Header=BB21_23 Depth=2
	s_andn2_saveexec_b64 s[54:55], s[14:15]
	s_cbranch_execz .LBB21_22
; %bb.26:                               ;   in Loop: Header=BB21_23 Depth=2
	v_add_u32_e32 v0, v32, v42
	v_mul_lo_u32 v44, v0, s19
	v_add_u32_e32 v0, v44, v32
	v_ashrrev_i32_e32 v1, 31, v0
	v_lshlrev_b64 v[0:1], 4, v[0:1]
	v_mov_b32_e32 v2, s25
	v_add_co_u32_e32 v0, vcc, s24, v0
	v_addc_co_u32_e32 v1, vcc, v2, v1, vcc
	global_load_dwordx4 v[0:3], v[0:1], off
	v_add_u32_e32 v10, v32, v27
	v_mul_lo_u32 v46, v10, s19
	v_cmp_gt_i32_e64 s[14:15], s19, v43
	s_mov_b64 s[56:57], 0
	v_mov_b32_e32 v45, v29
	v_mov_b32_e32 v36, v20
	s_waitcnt vmcnt(0)
	v_mul_f64 v[4:5], v[2:3], v[2:3]
	v_fmac_f64_e32 v[4:5], v[0:1], v[0:1]
	v_div_scale_f64 v[6:7], s[58:59], v[4:5], v[4:5], 1.0
	v_rcp_f64_e32 v[8:9], v[6:7]
	v_div_scale_f64 v[10:11], vcc, 1.0, v[4:5], 1.0
	v_fma_f64 v[12:13], -v[6:7], v[8:9], 1.0
	v_fmac_f64_e32 v[8:9], v[8:9], v[12:13]
	v_fma_f64 v[12:13], -v[6:7], v[8:9], 1.0
	v_fmac_f64_e32 v[8:9], v[8:9], v[12:13]
	v_mul_f64 v[12:13], v[10:11], v[8:9]
	v_fma_f64 v[6:7], -v[6:7], v[12:13], v[10:11]
	v_div_fmas_f64 v[6:7], v[6:7], v[8:9], v[12:13]
	v_div_fixup_f64 v[34:35], v[6:7], v[4:5], 1.0
	s_branch .LBB21_28
.LBB21_27:                              ;   in Loop: Header=BB21_28 Depth=3
	s_or_b64 exec, exec, s[58:59]
	v_add_u32_e32 v36, 64, v36
	v_cmp_le_i32_e32 vcc, s19, v36
	s_or_b64 s[56:57], vcc, s[56:57]
	v_add_u32_e32 v45, s68, v45
	s_andn2_b64 exec, exec, s[56:57]
	s_cbranch_execz .LBB21_21
.LBB21_28:                              ;   Parent Loop BB21_13 Depth=1
                                        ;     Parent Loop BB21_23 Depth=2
                                        ; =>    This Loop Header: Depth=3
                                        ;         Child Loop BB21_38 Depth 4
	s_and_b64 vcc, exec, s[42:43]
	v_add_u32_e32 v10, v36, v46
	s_cbranch_vccz .LBB21_49
; %bb.29:                               ;   in Loop: Header=BB21_28 Depth=3
	v_add_u32_e32 v4, v36, v46
	v_add_u32_e32 v11, v36, v27
	s_cbranch_execnz .LBB21_31
.LBB21_30:                              ;   in Loop: Header=BB21_28 Depth=3
	v_mad_u64_u32 v[4:5], s[58:59], v11, s19, v[32:33]
.LBB21_31:                              ;   in Loop: Header=BB21_28 Depth=3
	v_ashrrev_i32_e32 v5, 31, v4
	v_lshlrev_b64 v[4:5], 4, v[4:5]
	v_mov_b32_e32 v6, s25
	v_add_co_u32_e32 v4, vcc, s24, v4
	v_addc_co_u32_e32 v5, vcc, v6, v5, vcc
	global_load_dwordx4 v[6:9], v[4:5], off
	s_and_b64 vcc, exec, s[42:43]
	s_cbranch_vccz .LBB21_50
; %bb.32:                               ;   in Loop: Header=BB21_28 Depth=3
	s_cbranch_execnz .LBB21_34
.LBB21_33:                              ;   in Loop: Header=BB21_28 Depth=3
	v_mad_u64_u32 v[10:11], s[58:59], v11, s19, v[32:33]
.LBB21_34:                              ;   in Loop: Header=BB21_28 Depth=3
	s_waitcnt vmcnt(0)
	v_mul_f64 v[4:5], v[2:3], v[8:9]
	v_fmac_f64_e32 v[4:5], v[6:7], v[0:1]
	v_mul_f64 v[6:7], v[2:3], -v[6:7]
	v_ashrrev_i32_e32 v11, 31, v10
	v_fmac_f64_e32 v[6:7], v[8:9], v[0:1]
	v_lshlrev_b64 v[8:9], 4, v[10:11]
	v_mov_b32_e32 v10, s25
	v_add_co_u32_e32 v8, vcc, s24, v8
	v_mul_f64 v[4:5], v[34:35], v[4:5]
	v_mul_f64 v[6:7], v[34:35], v[6:7]
	v_addc_co_u32_e32 v9, vcc, v10, v9, vcc
	global_store_dwordx4 v[8:9], v[4:7], off
	s_and_saveexec_b64 s[58:59], s[14:15]
	s_cbranch_execz .LBB21_27
; %bb.35:                               ;   in Loop: Header=BB21_28 Depth=3
	s_mov_b64 s[60:61], 0
	v_mov_b32_e32 v47, v43
	s_branch .LBB21_38
.LBB21_36:                              ;   in Loop: Header=BB21_38 Depth=4
	v_mov_b32_e32 v38, v48
.LBB21_37:                              ;   in Loop: Header=BB21_38 Depth=4
	s_waitcnt vmcnt(0)
	v_fma_f64 v[12:13], -v[4:5], v[8:9], v[12:13]
	v_fma_f64 v[8:9], -v[6:7], v[8:9], v[14:15]
	v_ashrrev_i32_e32 v39, 31, v38
	v_fma_f64 v[14:15], -v[4:5], v[10:11], v[8:9]
	v_lshlrev_b64 v[8:9], 4, v[38:39]
	v_fmac_f64_e32 v[12:13], v[6:7], v[10:11]
	v_mov_b32_e32 v10, s25
	v_add_co_u32_e32 v8, vcc, s24, v8
	v_addc_co_u32_e32 v9, vcc, v10, v9, vcc
	v_add_u32_e32 v47, 1, v47
	v_cmp_le_i32_e32 vcc, s19, v47
	s_or_b64 s[60:61], vcc, s[60:61]
	global_store_dwordx4 v[8:9], v[12:15], off
	s_andn2_b64 exec, exec, s[60:61]
	s_cbranch_execz .LBB21_27
.LBB21_38:                              ;   Parent Loop BB21_13 Depth=1
                                        ;     Parent Loop BB21_23 Depth=2
                                        ;       Parent Loop BB21_28 Depth=3
                                        ; =>      This Inner Loop Header: Depth=4
	s_and_b64 vcc, exec, s[42:43]
	s_cbranch_vccz .LBB21_46
; %bb.39:                               ;   in Loop: Header=BB21_38 Depth=4
	v_add_u32_e32 v8, v47, v42
	v_mad_u64_u32 v[8:9], s[62:63], v8, s19, v[32:33]
	s_cbranch_execnz .LBB21_41
.LBB21_40:                              ;   in Loop: Header=BB21_38 Depth=4
	v_add_u32_e32 v8, v44, v47
.LBB21_41:                              ;   in Loop: Header=BB21_38 Depth=4
	v_ashrrev_i32_e32 v9, 31, v8
	v_lshlrev_b64 v[8:9], 4, v[8:9]
	v_mov_b32_e32 v10, s25
	v_add_co_u32_e32 v8, vcc, s24, v8
	v_addc_co_u32_e32 v9, vcc, v10, v9, vcc
	global_load_dwordx4 v[8:11], v[8:9], off
	s_and_b64 vcc, exec, s[42:43]
	v_add_u32_e32 v38, v47, v27
	s_cbranch_vccz .LBB21_47
; %bb.42:                               ;   in Loop: Header=BB21_38 Depth=4
	v_mad_u64_u32 v[12:13], s[62:63], v38, s19, v[36:37]
	v_add_u32_e32 v48, v45, v47
	s_cbranch_execnz .LBB21_44
.LBB21_43:                              ;   in Loop: Header=BB21_38 Depth=4
	v_add_u32_e32 v12, v45, v47
.LBB21_44:                              ;   in Loop: Header=BB21_38 Depth=4
	v_ashrrev_i32_e32 v13, 31, v12
	v_lshlrev_b64 v[12:13], 4, v[12:13]
	v_mov_b32_e32 v14, s25
	v_add_co_u32_e32 v12, vcc, s24, v12
	v_addc_co_u32_e32 v13, vcc, v14, v13, vcc
	global_load_dwordx4 v[12:15], v[12:13], off
	s_and_b64 vcc, exec, s[42:43]
	s_cbranch_vccz .LBB21_48
; %bb.45:                               ;   in Loop: Header=BB21_38 Depth=4
	v_mad_u64_u32 v[38:39], s[62:63], v38, s19, v[36:37]
	s_cbranch_execnz .LBB21_37
	s_branch .LBB21_36
.LBB21_46:                              ;   in Loop: Header=BB21_38 Depth=4
                                        ; implicit-def: $vgpr8
	s_branch .LBB21_40
.LBB21_47:                              ;   in Loop: Header=BB21_38 Depth=4
                                        ; implicit-def: $vgpr12
	v_add_u32_e32 v48, v45, v47
	s_branch .LBB21_43
.LBB21_48:                              ;   in Loop: Header=BB21_38 Depth=4
                                        ; implicit-def: $vgpr38
	s_branch .LBB21_36
.LBB21_49:                              ;   in Loop: Header=BB21_28 Depth=3
                                        ; implicit-def: $vgpr4
	v_add_u32_e32 v11, v36, v27
	s_branch .LBB21_30
.LBB21_50:                              ;   in Loop: Header=BB21_28 Depth=3
                                        ; implicit-def: $vgpr10
	s_branch .LBB21_33
.LBB21_51:                              ;   in Loop: Header=BB21_13 Depth=1
	s_or_b64 exec, exec, s[52:53]
.LBB21_52:                              ;   in Loop: Header=BB21_13 Depth=1
	v_subrev_u32_e32 v7, s18, v41
	v_add_u32_e32 v4, 1, v40
	v_cmp_lt_i32_e32 vcc, v4, v7
	s_and_saveexec_b64 s[14:15], vcc
	s_cbranch_execz .LBB21_11
; %bb.53:                               ;   in Loop: Header=BB21_13 Depth=1
	v_mul_lo_u32 v14, s67, v4
	s_mov_b64 s[52:53], 0
	s_branch .LBB21_56
.LBB21_54:                              ;   in Loop: Header=BB21_56 Depth=2
	s_or_b64 exec, exec, s[54:55]
.LBB21_55:                              ;   in Loop: Header=BB21_56 Depth=2
	v_add_u32_e32 v4, 1, v4
	v_cmp_ge_i32_e32 vcc, v4, v7
	s_or_b64 s[52:53], vcc, s[52:53]
	v_add_u32_e32 v14, s67, v14
	s_andn2_b64 exec, exec, s[52:53]
	s_cbranch_execz .LBB21_11
.LBB21_56:                              ;   Parent Loop BB21_13 Depth=1
                                        ; =>  This Loop Header: Depth=2
                                        ;       Child Loop BB21_61 Depth 3
                                        ;       Child Loop BB21_68 Depth 3
                                        ;         Child Loop BB21_71 Depth 4
                                        ;           Child Loop BB21_73 Depth 5
	v_ashrrev_i32_e32 v5, 31, v4
	s_waitcnt lgkmcnt(0)
	v_lshlrev_b64 v[0:1], 2, v[4:5]
	v_mov_b32_e32 v2, s23
	v_add_co_u32_e32 v0, vcc, s22, v0
	v_addc_co_u32_e32 v1, vcc, v2, v1, vcc
	global_load_dword v0, v[0:1], off
	v_mov_b32_e32 v1, s33
	s_and_saveexec_b64 s[54:55], s[10:11]
	s_cbranch_execz .LBB21_58
; %bb.57:                               ;   in Loop: Header=BB21_56 Depth=2
	global_load_dword v1, v[30:31], off
	s_waitcnt vmcnt(0)
	v_subrev_u32_e32 v1, s18, v1
.LBB21_58:                              ;   in Loop: Header=BB21_56 Depth=2
	s_or_b64 exec, exec, s[54:55]
	s_waitcnt vmcnt(0)
	v_subrev_u32_e32 v2, s18, v0
	v_cmp_lt_i32_e32 vcc, v1, v2
	v_mov_b32_e32 v3, v28
	s_and_saveexec_b64 s[54:55], vcc
	s_cbranch_execz .LBB21_64
; %bb.59:                               ;   in Loop: Header=BB21_56 Depth=2
	s_mov_b64 s[56:57], 0
	v_mov_b32_e32 v0, v28
	s_branch .LBB21_61
.LBB21_60:                              ;   in Loop: Header=BB21_61 Depth=3
	s_or_b64 exec, exec, s[58:59]
	v_cmp_ge_i32_e32 vcc, v1, v2
	s_or_b64 s[56:57], vcc, s[56:57]
	v_mov_b32_e32 v0, v3
	s_andn2_b64 exec, exec, s[56:57]
	s_cbranch_execz .LBB21_63
.LBB21_61:                              ;   Parent Loop BB21_13 Depth=1
                                        ;     Parent Loop BB21_56 Depth=2
                                        ; =>    This Inner Loop Header: Depth=3
	v_add_u32_e32 v3, 64, v0
	v_cmp_lt_i32_e32 vcc, v3, v17
	v_mov_b32_e32 v1, s33
	s_and_saveexec_b64 s[58:59], vcc
	s_cbranch_execz .LBB21_60
; %bb.62:                               ;   in Loop: Header=BB21_61 Depth=3
	v_ashrrev_i32_e32 v1, 31, v0
	v_lshlrev_b64 v[0:1], 2, v[0:1]
	v_mov_b32_e32 v5, s66
	v_add_co_u32_e32 v0, vcc, s65, v0
	v_addc_co_u32_e32 v1, vcc, v5, v1, vcc
	global_load_dword v0, v[0:1], off
	s_waitcnt vmcnt(0)
	v_subrev_u32_e32 v1, s18, v0
	s_branch .LBB21_60
.LBB21_63:                              ;   in Loop: Header=BB21_56 Depth=2
	s_or_b64 exec, exec, s[56:57]
.LBB21_64:                              ;   in Loop: Header=BB21_56 Depth=2
	s_or_b64 exec, exec, s[54:55]
	v_cmp_eq_u32_e32 vcc, v1, v2
	s_cbranch_vccz .LBB21_55
; %bb.65:                               ;   in Loop: Header=BB21_56 Depth=2
	s_ff1_i32_b64 s27, vcc
	v_and_or_b32 v0, v37, 64, s27
	v_lshlrev_b32_e32 v0, 2, v0
	ds_bpermute_b32 v0, v0, v3
	s_and_saveexec_b64 s[54:55], s[6:7]
	s_cbranch_execz .LBB21_54
; %bb.66:                               ;   in Loop: Header=BB21_56 Depth=2
	v_mul_lo_u32 v5, v4, s19
	s_waitcnt lgkmcnt(0)
	v_mul_lo_u32 v15, v0, s19
	s_mov_b64 s[56:57], 0
	v_mov_b32_e32 v32, v29
	v_mov_b32_e32 v6, v20
	s_branch .LBB21_68
.LBB21_67:                              ;   in Loop: Header=BB21_68 Depth=3
	v_add_u32_e32 v6, 64, v6
	v_cmp_le_i32_e32 vcc, s19, v6
	s_or_b64 s[56:57], vcc, s[56:57]
	v_add_u32_e32 v32, s68, v32
	s_andn2_b64 exec, exec, s[56:57]
	s_cbranch_execz .LBB21_54
.LBB21_68:                              ;   Parent Loop BB21_13 Depth=1
                                        ;     Parent Loop BB21_56 Depth=2
                                        ; =>    This Loop Header: Depth=3
                                        ;         Child Loop BB21_71 Depth 4
                                        ;           Child Loop BB21_73 Depth 5
	v_add_u32_e32 v0, v6, v15
	v_mul_lo_u32 v34, v0, s19
	s_mov_b32 s27, 0
	v_mov_b32_e32 v35, v14
	s_branch .LBB21_71
.LBB21_69:                              ;   in Loop: Header=BB21_71 Depth=4
	v_add_u32_e32 v0, s27, v34
.LBB21_70:                              ;   in Loop: Header=BB21_71 Depth=4
	v_ashrrev_i32_e32 v1, 31, v0
	v_lshlrev_b64 v[0:1], 4, v[0:1]
	v_mov_b32_e32 v2, s25
	v_add_co_u32_e32 v12, vcc, s24, v0
	v_addc_co_u32_e32 v13, vcc, v2, v1, vcc
	global_load_dwordx4 v[0:3], v[12:13], off
	s_add_i32 s27, s27, 1
	s_cmp_eq_u32 s27, s19
	v_add_u32_e32 v35, 1, v35
	s_waitcnt vmcnt(0)
	v_add_f64 v[0:1], v[0:1], -v[8:9]
	v_add_f64 v[2:3], v[2:3], -v[10:11]
	global_store_dwordx4 v[12:13], v[0:3], off
	s_cbranch_scc1 .LBB21_67
.LBB21_71:                              ;   Parent Loop BB21_13 Depth=1
                                        ;     Parent Loop BB21_56 Depth=2
                                        ;       Parent Loop BB21_68 Depth=3
                                        ; =>      This Loop Header: Depth=4
                                        ;           Child Loop BB21_73 Depth 5
	v_add_u32_e32 v0, s27, v5
	v_pk_mov_b32 v[8:9], 0, 0
	v_mul_lo_u32 v36, v0, s19
	v_mov_b32_e32 v38, v35
	s_mov_b32 s60, 0
	v_pk_mov_b32 v[10:11], v[8:9], v[8:9] op_sel:[0,1]
	s_branch .LBB21_73
.LBB21_72:                              ;   in Loop: Header=BB21_73 Depth=5
	v_ashrrev_i32_e32 v13, 31, v12
	v_lshlrev_b64 v[12:13], 4, v[12:13]
	v_mov_b32_e32 v39, s25
	v_add_co_u32_e32 v12, vcc, s24, v12
	v_addc_co_u32_e32 v13, vcc, v39, v13, vcc
	global_load_dwordx4 v[40:43], v[12:13], off
	s_add_i32 s60, s60, 1
	s_cmp_eq_u32 s19, s60
	v_add_u32_e32 v38, s19, v38
	s_waitcnt vmcnt(0)
	v_fmac_f64_e32 v[8:9], v[0:1], v[40:41]
	v_fmac_f64_e32 v[10:11], v[2:3], v[40:41]
	v_fma_f64 v[8:9], -v[2:3], v[42:43], v[8:9]
	v_fmac_f64_e32 v[10:11], v[0:1], v[42:43]
	s_cbranch_scc1 .LBB21_79
.LBB21_73:                              ;   Parent Loop BB21_13 Depth=1
                                        ;     Parent Loop BB21_56 Depth=2
                                        ;       Parent Loop BB21_68 Depth=3
                                        ;         Parent Loop BB21_71 Depth=4
                                        ; =>        This Inner Loop Header: Depth=5
	s_and_b64 vcc, exec, s[42:43]
	s_cbranch_vccz .LBB21_78
; %bb.74:                               ;   in Loop: Header=BB21_73 Depth=5
	v_add_u32_e32 v0, s60, v27
	v_mad_u64_u32 v[0:1], s[58:59], v0, s19, v[6:7]
	s_cbranch_execnz .LBB21_76
.LBB21_75:                              ;   in Loop: Header=BB21_73 Depth=5
	v_add_u32_e32 v0, s60, v32
.LBB21_76:                              ;   in Loop: Header=BB21_73 Depth=5
	v_ashrrev_i32_e32 v1, 31, v0
	v_lshlrev_b64 v[0:1], 4, v[0:1]
	v_mov_b32_e32 v2, s25
	v_add_co_u32_e32 v0, vcc, s24, v0
	v_addc_co_u32_e32 v1, vcc, v2, v1, vcc
	global_load_dwordx4 v[0:3], v[0:1], off
	s_andn2_b64 vcc, exec, s[42:43]
	v_mov_b32_e32 v12, v38
	s_cbranch_vccnz .LBB21_72
; %bb.77:                               ;   in Loop: Header=BB21_73 Depth=5
	v_add_u32_e32 v12, s60, v36
	s_branch .LBB21_72
.LBB21_78:                              ;   in Loop: Header=BB21_73 Depth=5
                                        ; implicit-def: $vgpr0
	s_branch .LBB21_75
.LBB21_79:                              ;   in Loop: Header=BB21_71 Depth=4
	s_and_b64 vcc, exec, s[42:43]
	s_cbranch_vccz .LBB21_81
; %bb.80:                               ;   in Loop: Header=BB21_71 Depth=4
	v_add_u32_e32 v0, s27, v15
	v_mad_u64_u32 v[0:1], s[58:59], v0, s19, v[6:7]
	s_cbranch_execnz .LBB21_70
	s_branch .LBB21_69
.LBB21_81:                              ;   in Loop: Header=BB21_71 Depth=4
                                        ; implicit-def: $vgpr0
	s_branch .LBB21_69
.LBB21_82:
	s_or_b64 exec, exec, s[20:21]
	s_and_b64 s[10:11], s[44:45], exec
.LBB21_83:
	s_or_b64 exec, exec, s[4:5]
	v_ashrrev_i32_e32 v23, 31, v22
	s_waitcnt lgkmcnt(0)
	v_lshlrev_b64 v[0:1], 2, v[22:23]
	v_mov_b32_e32 v2, s23
	v_add_co_u32_e32 v0, vcc, s22, v0
	v_addc_co_u32_e32 v1, vcc, v2, v1, vcc
	global_load_dword v0, v[0:1], off
	s_cmp_gt_i32 s19, 0
	s_cselect_b64 s[12:13], -1, 0
	s_waitcnt vmcnt(0)
	v_subrev_u32_e32 v0, s18, v0
	v_cmp_eq_u32_e32 vcc, v0, v16
	s_and_b64 s[4:5], s[12:13], vcc
	s_and_saveexec_b64 s[14:15], s[4:5]
	s_cbranch_execz .LBB21_129
; %bb.84:
	s_cmp_eq_u64 s[36:37], 8
	v_cvt_f64_f32_e32 v[0:1], v21
	s_cselect_b64 vcc, -1, 0
	s_cmp_lg_u32 s38, 0
	v_mul_lo_u32 v15, v22, s19
	s_mov_b32 s26, 0
	v_cndmask_b32_e32 v13, v1, v25, vcc
	v_cndmask_b32_e32 v12, v0, v24, vcc
	s_cselect_b64 s[20:21], -1, 0
	v_cmp_eq_u32_e64 s[6:7], 0, v20
	v_add3_u32 v21, v15, v20, 1
	s_lshl_b32 s33, s19, 6
	s_mov_b64 s[22:23], 0
	v_mov_b32_e32 v14, 0
	v_mov_b32_e32 v23, s25
	s_brev_b32 s27, 8
	v_mov_b32_e32 v25, 0x260
	v_mov_b32_e32 v34, 0
	;; [unrolled: 1-line block ×4, first 2 shown]
	s_mov_b64 s[40:41], s[10:11]
                                        ; implicit-def: $sgpr36_sgpr37
	s_branch .LBB21_86
.LBB21_85:                              ;   in Loop: Header=BB21_86 Depth=1
	s_or_b64 exec, exec, s[8:9]
	v_cmp_eq_u32_e32 vcc, s19, v38
	s_or_b64 s[22:23], vcc, s[22:23]
	s_andn2_b64 s[4:5], s[36:37], exec
	s_and_b64 s[8:9], s[40:41], exec
	s_or_b64 s[36:37], s[4:5], s[8:9]
	v_mov_b32_e32 v14, v38
	s_andn2_b64 exec, exec, s[22:23]
	s_cbranch_execz .LBB21_128
.LBB21_86:                              ; =>This Loop Header: Depth=1
                                        ;     Child Loop BB21_102 Depth 2
                                        ;       Child Loop BB21_112 Depth 3
	v_add_u32_e32 v0, v14, v15
	v_mul_lo_u32 v37, v0, s19
	v_add_u32_e32 v0, v37, v14
	v_ashrrev_i32_e32 v1, 31, v0
	v_lshlrev_b64 v[0:1], 4, v[0:1]
	v_add_co_u32_e32 v4, vcc, s24, v0
	v_addc_co_u32_e32 v5, vcc, v23, v1, vcc
	global_load_dwordx4 v[0:3], v[4:5], off
	s_mov_b64 s[42:43], -1
	s_and_b64 vcc, exec, s[16:17]
	s_mov_b64 s[8:9], 0
	s_waitcnt vmcnt(0)
	buffer_store_dword v3, off, s[0:3], 0 offset:28
	buffer_store_dword v2, off, s[0:3], 0 offset:24
	;; [unrolled: 1-line block ×4, first 2 shown]
	s_cbranch_vccnz .LBB21_96
; %bb.87:                               ;   in Loop: Header=BB21_86 Depth=1
	v_xor_b32_e32 v6, 0x80000000, v1
	v_cmp_gt_f64_e32 vcc, 0, v[0:1]
	v_cndmask_b32_e32 v7, v1, v6, vcc
	v_cndmask_b32_e32 v6, v0, v0, vcc
	v_xor_b32_e32 v8, 0x80000000, v3
	v_cmp_gt_f64_e32 vcc, 0, v[2:3]
	v_cndmask_b32_e32 v9, v3, v8, vcc
	v_cndmask_b32_e32 v8, v2, v2, vcc
	v_cmp_ngt_f64_e32 vcc, v[6:7], v[8:9]
                                        ; implicit-def: $vgpr10_vgpr11
	s_and_saveexec_b64 s[4:5], vcc
	s_xor_b64 s[4:5], exec, s[4:5]
	s_cbranch_execz .LBB21_91
; %bb.88:                               ;   in Loop: Header=BB21_86 Depth=1
	v_cmp_neq_f64_e32 vcc, 0, v[2:3]
	v_pk_mov_b32 v[10:11], 0, 0
	s_and_saveexec_b64 s[8:9], vcc
	s_cbranch_execz .LBB21_90
; %bb.89:                               ;   in Loop: Header=BB21_86 Depth=1
	v_div_scale_f64 v[10:11], s[42:43], v[8:9], v[8:9], v[6:7]
	v_rcp_f64_e32 v[26:27], v[10:11]
	v_div_scale_f64 v[28:29], vcc, v[6:7], v[8:9], v[6:7]
	v_fma_f64 v[30:31], -v[10:11], v[26:27], 1.0
	v_fmac_f64_e32 v[26:27], v[26:27], v[30:31]
	v_fma_f64 v[30:31], -v[10:11], v[26:27], 1.0
	v_fmac_f64_e32 v[26:27], v[26:27], v[30:31]
	v_mul_f64 v[30:31], v[28:29], v[26:27]
	v_fma_f64 v[10:11], -v[10:11], v[30:31], v[28:29]
	v_div_fmas_f64 v[10:11], v[10:11], v[26:27], v[30:31]
	v_div_fixup_f64 v[6:7], v[10:11], v[8:9], v[6:7]
	v_fma_f64 v[6:7], v[6:7], v[6:7], 1.0
	v_cmp_gt_f64_e32 vcc, s[26:27], v[6:7]
	v_cndmask_b32_e64 v10, 0, 1, vcc
	v_lshlrev_b32_e32 v10, 8, v10
	v_ldexp_f64 v[6:7], v[6:7], v10
	v_rsq_f64_e32 v[10:11], v[6:7]
	v_mul_f64 v[26:27], v[6:7], v[10:11]
	v_mul_f64 v[10:11], v[10:11], 0.5
	v_fma_f64 v[28:29], -v[10:11], v[26:27], 0.5
	v_fmac_f64_e32 v[26:27], v[26:27], v[28:29]
	v_fma_f64 v[30:31], -v[26:27], v[26:27], v[6:7]
	v_fmac_f64_e32 v[10:11], v[10:11], v[28:29]
	v_fmac_f64_e32 v[26:27], v[30:31], v[10:11]
	v_fma_f64 v[28:29], -v[26:27], v[26:27], v[6:7]
	v_fmac_f64_e32 v[26:27], v[28:29], v[10:11]
	v_cndmask_b32_e32 v10, 0, v36, vcc
	v_ldexp_f64 v[10:11], v[26:27], v10
	v_cmp_class_f64_e32 vcc, v[6:7], v25
	v_cndmask_b32_e32 v7, v11, v7, vcc
	v_cndmask_b32_e32 v6, v10, v6, vcc
	v_mul_f64 v[10:11], v[8:9], v[6:7]
.LBB21_90:                              ;   in Loop: Header=BB21_86 Depth=1
	s_or_b64 exec, exec, s[8:9]
                                        ; implicit-def: $vgpr6_vgpr7
                                        ; implicit-def: $vgpr8_vgpr9
.LBB21_91:                              ;   in Loop: Header=BB21_86 Depth=1
	s_andn2_saveexec_b64 s[4:5], s[4:5]
	s_cbranch_execz .LBB21_93
; %bb.92:                               ;   in Loop: Header=BB21_86 Depth=1
	v_div_scale_f64 v[10:11], s[8:9], v[6:7], v[6:7], v[8:9]
	v_rcp_f64_e32 v[26:27], v[10:11]
	v_div_scale_f64 v[28:29], vcc, v[8:9], v[6:7], v[8:9]
	v_fma_f64 v[30:31], -v[10:11], v[26:27], 1.0
	v_fmac_f64_e32 v[26:27], v[26:27], v[30:31]
	v_fma_f64 v[30:31], -v[10:11], v[26:27], 1.0
	v_fmac_f64_e32 v[26:27], v[26:27], v[30:31]
	v_mul_f64 v[30:31], v[28:29], v[26:27]
	v_fma_f64 v[10:11], -v[10:11], v[30:31], v[28:29]
	v_div_fmas_f64 v[10:11], v[10:11], v[26:27], v[30:31]
	v_div_fixup_f64 v[8:9], v[10:11], v[6:7], v[8:9]
	v_fma_f64 v[8:9], v[8:9], v[8:9], 1.0
	v_cmp_gt_f64_e32 vcc, s[26:27], v[8:9]
	v_cndmask_b32_e64 v10, 0, 1, vcc
	v_lshlrev_b32_e32 v10, 8, v10
	v_ldexp_f64 v[8:9], v[8:9], v10
	v_rsq_f64_e32 v[10:11], v[8:9]
	v_mul_f64 v[26:27], v[8:9], v[10:11]
	v_mul_f64 v[10:11], v[10:11], 0.5
	v_fma_f64 v[28:29], -v[10:11], v[26:27], 0.5
	v_fmac_f64_e32 v[26:27], v[26:27], v[28:29]
	v_fma_f64 v[30:31], -v[26:27], v[26:27], v[8:9]
	v_fmac_f64_e32 v[10:11], v[10:11], v[28:29]
	v_fmac_f64_e32 v[26:27], v[30:31], v[10:11]
	v_fma_f64 v[28:29], -v[26:27], v[26:27], v[8:9]
	v_fmac_f64_e32 v[26:27], v[28:29], v[10:11]
	v_cndmask_b32_e32 v10, 0, v36, vcc
	v_ldexp_f64 v[10:11], v[26:27], v10
	v_cmp_class_f64_e32 vcc, v[8:9], v25
	v_cndmask_b32_e32 v9, v11, v9, vcc
	v_cndmask_b32_e32 v8, v10, v8, vcc
	v_mul_f64 v[10:11], v[6:7], v[8:9]
.LBB21_93:                              ;   in Loop: Header=BB21_86 Depth=1
	s_or_b64 exec, exec, s[4:5]
	v_cmp_le_f64_e32 vcc, v[10:11], v[12:13]
	v_cndmask_b32_e32 v6, v35, v34, vcc
	buffer_load_dword v7, v6, s[0:3], 0 offen
	buffer_load_dword v8, v6, s[0:3], 0 offen offset:4
	buffer_load_dword v9, v6, s[0:3], 0 offen offset:8
	;; [unrolled: 1-line block ×3, first 2 shown]
	s_waitcnt vmcnt(3)
	buffer_store_dword v7, off, s[0:3], 0 offset:16
	s_waitcnt vmcnt(3)
	buffer_store_dword v8, off, s[0:3], 0 offset:20
	;; [unrolled: 2-line block ×4, first 2 shown]
	s_and_saveexec_b64 s[4:5], s[6:7]
	s_cbranch_execz .LBB21_95
; %bb.94:                               ;   in Loop: Header=BB21_86 Depth=1
	buffer_load_dword v8, v6, s[0:3], 0 offen
	buffer_load_dword v9, v6, s[0:3], 0 offen offset:4
	buffer_load_dword v10, v6, s[0:3], 0 offen offset:8
	buffer_load_dword v11, v6, s[0:3], 0 offen offset:12
	s_waitcnt vmcnt(0)
	global_store_dwordx4 v[4:5], v[8:11], off
.LBB21_95:                              ;   in Loop: Header=BB21_86 Depth=1
	s_or_b64 exec, exec, s[4:5]
	s_mov_b64 s[8:9], -1
	s_mov_b64 s[4:5], 0
	s_branch .LBB21_98
.LBB21_96:                              ;   in Loop: Header=BB21_86 Depth=1
	s_mov_b64 s[4:5], 0
	s_and_b64 vcc, exec, s[42:43]
	s_cbranch_vccz .LBB21_98
; %bb.97:                               ;   in Loop: Header=BB21_86 Depth=1
	v_cmp_neq_f64_e32 vcc, 0, v[0:1]
	v_cmp_neq_f64_e64 s[4:5], 0, v[2:3]
	s_or_b64 s[42:43], vcc, s[4:5]
	s_andn2_b64 s[8:9], s[8:9], exec
	s_and_b64 s[42:43], s[42:43], exec
	s_mov_b64 s[4:5], -1
	s_or_b64 s[8:9], s[8:9], s[42:43]
.LBB21_98:                              ;   in Loop: Header=BB21_86 Depth=1
                                        ; implicit-def: $sgpr44_sgpr45
                                        ; implicit-def: $vgpr38
	s_and_saveexec_b64 s[42:43], s[8:9]
	s_xor_b64 s[42:43], exec, s[42:43]
	s_cbranch_execz .LBB21_126
; %bb.99:                               ;   in Loop: Header=BB21_86 Depth=1
	v_add_u32_e32 v38, 1, v14
	v_add_u32_e32 v24, v38, v20
	v_cmp_gt_i32_e32 vcc, s19, v24
	s_and_saveexec_b64 s[44:45], vcc
	s_cbranch_execz .LBB21_125
; %bb.100:                              ;   in Loop: Header=BB21_86 Depth=1
	buffer_load_dword v26, off, s[0:3], 0 offset:24
	buffer_load_dword v27, off, s[0:3], 0 offset:28
	buffer_load_dword v28, off, s[0:3], 0 offset:16
	buffer_load_dword v29, off, s[0:3], 0 offset:20
	v_add_u32_e32 v6, v21, v14
	v_mul_lo_u32 v39, s19, v6
	v_cmp_gt_i32_e64 s[8:9], s19, v38
	s_waitcnt vmcnt(2)
	v_mul_f64 v[0:1], v[26:27], v[26:27]
	s_waitcnt vmcnt(0)
	v_fmac_f64_e32 v[0:1], v[28:29], v[28:29]
	v_div_scale_f64 v[2:3], s[46:47], v[0:1], v[0:1], 1.0
	v_rcp_f64_e32 v[4:5], v[2:3]
	v_div_scale_f64 v[6:7], vcc, 1.0, v[0:1], 1.0
	s_mov_b64 s[46:47], 0
	v_fma_f64 v[8:9], -v[2:3], v[4:5], 1.0
	v_fmac_f64_e32 v[4:5], v[4:5], v[8:9]
	v_fma_f64 v[8:9], -v[2:3], v[4:5], 1.0
	v_fmac_f64_e32 v[4:5], v[4:5], v[8:9]
	v_mul_f64 v[8:9], v[6:7], v[4:5]
	v_fma_f64 v[2:3], -v[2:3], v[8:9], v[6:7]
	v_div_fmas_f64 v[2:3], v[2:3], v[4:5], v[8:9]
	v_div_fixup_f64 v[30:31], v[2:3], v[0:1], 1.0
	s_branch .LBB21_102
.LBB21_101:                             ;   in Loop: Header=BB21_102 Depth=2
	s_or_b64 exec, exec, s[48:49]
	v_add_u32_e32 v24, 64, v24
	v_cmp_le_i32_e32 vcc, s19, v24
	s_or_b64 s[46:47], vcc, s[46:47]
	v_add_u32_e32 v39, s33, v39
	s_andn2_b64 exec, exec, s[46:47]
	s_cbranch_execz .LBB21_125
.LBB21_102:                             ;   Parent Loop BB21_86 Depth=1
                                        ; =>  This Loop Header: Depth=2
                                        ;       Child Loop BB21_112 Depth 3
	s_and_b64 vcc, exec, s[20:21]
	v_add_u32_e32 v6, v24, v37
	s_cbranch_vccz .LBB21_123
; %bb.103:                              ;   in Loop: Header=BB21_102 Depth=2
	v_add_u32_e32 v0, v24, v37
	s_cbranch_execnz .LBB21_105
.LBB21_104:                             ;   in Loop: Header=BB21_102 Depth=2
	v_add_u32_e32 v0, v24, v15
	v_mad_u64_u32 v[0:1], s[48:49], v0, s19, v[14:15]
.LBB21_105:                             ;   in Loop: Header=BB21_102 Depth=2
	v_ashrrev_i32_e32 v1, 31, v0
	v_lshlrev_b64 v[0:1], 4, v[0:1]
	v_mov_b32_e32 v2, s25
	v_add_co_u32_e32 v0, vcc, s24, v0
	v_addc_co_u32_e32 v1, vcc, v2, v1, vcc
	global_load_dwordx4 v[2:5], v[0:1], off
	s_and_b64 vcc, exec, s[20:21]
	s_cbranch_vccz .LBB21_124
; %bb.106:                              ;   in Loop: Header=BB21_102 Depth=2
	s_cbranch_execnz .LBB21_108
.LBB21_107:                             ;   in Loop: Header=BB21_102 Depth=2
	v_add_u32_e32 v0, v24, v15
	v_mad_u64_u32 v[6:7], s[48:49], v0, s19, v[14:15]
.LBB21_108:                             ;   in Loop: Header=BB21_102 Depth=2
	s_waitcnt vmcnt(0)
	v_mul_f64 v[0:1], v[26:27], v[4:5]
	v_fmac_f64_e32 v[0:1], v[2:3], v[28:29]
	v_mul_f64 v[2:3], v[26:27], -v[2:3]
	v_ashrrev_i32_e32 v7, 31, v6
	v_fmac_f64_e32 v[2:3], v[4:5], v[28:29]
	v_lshlrev_b64 v[4:5], 4, v[6:7]
	v_mov_b32_e32 v6, s25
	v_add_co_u32_e32 v4, vcc, s24, v4
	v_mul_f64 v[0:1], v[30:31], v[0:1]
	v_mul_f64 v[2:3], v[30:31], v[2:3]
	v_addc_co_u32_e32 v5, vcc, v6, v5, vcc
	global_store_dwordx4 v[4:5], v[0:3], off
	s_and_saveexec_b64 s[48:49], s[8:9]
	s_cbranch_execz .LBB21_101
; %bb.109:                              ;   in Loop: Header=BB21_102 Depth=2
	s_mov_b64 s[50:51], 0
	v_mov_b32_e32 v40, v38
	s_branch .LBB21_112
.LBB21_110:                             ;   in Loop: Header=BB21_112 Depth=3
	v_add_u32_e32 v32, v39, v40
.LBB21_111:                             ;   in Loop: Header=BB21_112 Depth=3
	s_waitcnt vmcnt(0)
	v_fma_f64 v[8:9], -v[0:1], v[4:5], v[8:9]
	v_fma_f64 v[4:5], -v[2:3], v[4:5], v[10:11]
	v_ashrrev_i32_e32 v33, 31, v32
	v_fma_f64 v[10:11], -v[0:1], v[6:7], v[4:5]
	v_lshlrev_b64 v[4:5], 4, v[32:33]
	v_fmac_f64_e32 v[8:9], v[2:3], v[6:7]
	v_mov_b32_e32 v6, s25
	v_add_co_u32_e32 v4, vcc, s24, v4
	v_addc_co_u32_e32 v5, vcc, v6, v5, vcc
	v_add_u32_e32 v40, 1, v40
	v_cmp_le_i32_e32 vcc, s19, v40
	s_or_b64 s[50:51], vcc, s[50:51]
	global_store_dwordx4 v[4:5], v[8:11], off
	s_andn2_b64 exec, exec, s[50:51]
	s_cbranch_execz .LBB21_101
.LBB21_112:                             ;   Parent Loop BB21_86 Depth=1
                                        ;     Parent Loop BB21_102 Depth=2
                                        ; =>    This Inner Loop Header: Depth=3
	s_and_b64 vcc, exec, s[20:21]
	v_add_u32_e32 v32, v40, v15
	s_cbranch_vccz .LBB21_120
; %bb.113:                              ;   in Loop: Header=BB21_112 Depth=3
	v_mad_u64_u32 v[4:5], s[52:53], v32, s19, v[14:15]
	s_cbranch_execnz .LBB21_115
.LBB21_114:                             ;   in Loop: Header=BB21_112 Depth=3
	v_add_u32_e32 v4, v37, v40
.LBB21_115:                             ;   in Loop: Header=BB21_112 Depth=3
	v_ashrrev_i32_e32 v5, 31, v4
	v_lshlrev_b64 v[4:5], 4, v[4:5]
	v_mov_b32_e32 v6, s25
	v_add_co_u32_e32 v4, vcc, s24, v4
	v_addc_co_u32_e32 v5, vcc, v6, v5, vcc
	global_load_dwordx4 v[4:7], v[4:5], off
	s_and_b64 vcc, exec, s[20:21]
	s_cbranch_vccz .LBB21_121
; %bb.116:                              ;   in Loop: Header=BB21_112 Depth=3
	v_mad_u64_u32 v[8:9], s[52:53], v32, s19, v[24:25]
	s_cbranch_execnz .LBB21_118
.LBB21_117:                             ;   in Loop: Header=BB21_112 Depth=3
	v_add_u32_e32 v8, v39, v40
.LBB21_118:                             ;   in Loop: Header=BB21_112 Depth=3
	v_ashrrev_i32_e32 v9, 31, v8
	v_lshlrev_b64 v[8:9], 4, v[8:9]
	v_mov_b32_e32 v10, s25
	v_add_co_u32_e32 v8, vcc, s24, v8
	v_addc_co_u32_e32 v9, vcc, v10, v9, vcc
	global_load_dwordx4 v[8:11], v[8:9], off
	s_and_b64 vcc, exec, s[20:21]
	s_cbranch_vccz .LBB21_122
; %bb.119:                              ;   in Loop: Header=BB21_112 Depth=3
	v_mad_u64_u32 v[32:33], s[52:53], v32, s19, v[24:25]
	s_cbranch_execnz .LBB21_111
	s_branch .LBB21_110
.LBB21_120:                             ;   in Loop: Header=BB21_112 Depth=3
                                        ; implicit-def: $vgpr4
	s_branch .LBB21_114
.LBB21_121:                             ;   in Loop: Header=BB21_112 Depth=3
                                        ; implicit-def: $vgpr8
	s_branch .LBB21_117
.LBB21_122:                             ;   in Loop: Header=BB21_112 Depth=3
                                        ; implicit-def: $vgpr32
	s_branch .LBB21_110
.LBB21_123:                             ;   in Loop: Header=BB21_102 Depth=2
                                        ; implicit-def: $vgpr0
	s_branch .LBB21_104
.LBB21_124:                             ;   in Loop: Header=BB21_102 Depth=2
                                        ; implicit-def: $vgpr6
	s_branch .LBB21_107
.LBB21_125:                             ;   in Loop: Header=BB21_86 Depth=1
	s_or_b64 exec, exec, s[44:45]
	s_and_b64 s[44:45], s[40:41], exec
	s_andn2_b64 s[4:5], s[4:5], exec
.LBB21_126:                             ;   in Loop: Header=BB21_86 Depth=1
	s_or_b64 exec, exec, s[42:43]
	s_andn2_b64 s[8:9], s[40:41], exec
	s_and_b64 s[40:41], s[44:45], exec
	s_or_b64 s[40:41], s[8:9], s[40:41]
	s_and_saveexec_b64 s[8:9], s[4:5]
	s_cbranch_execz .LBB21_85
; %bb.127:                              ;   in Loop: Header=BB21_86 Depth=1
	v_add_u32_e32 v38, 1, v14
	s_or_b64 s[40:41], s[40:41], exec
	s_branch .LBB21_85
.LBB21_128:
	s_or_b64 exec, exec, s[22:23]
	s_andn2_b64 s[4:5], s[10:11], exec
	s_and_b64 s[6:7], s[36:37], exec
	s_or_b64 s[10:11], s[4:5], s[6:7]
.LBB21_129:
	s_or_b64 exec, exec, s[14:15]
	v_add_u32_e32 v14, 1, v22
	v_cmp_lt_i32_e32 vcc, v14, v17
	s_and_saveexec_b64 s[14:15], vcc
	s_cbranch_execz .LBB21_153
; %bb.130:
	v_mul_lo_u32 v15, v22, s19
	v_mul_lo_u32 v0, s19, v15
	s_mul_i32 s36, s19, s19
	v_add_u32_e32 v21, s19, v0
	v_mul_lo_u32 v0, s36, v14
	s_cmp_lg_u32 s38, 0
	v_add3_u32 v22, v0, s19, v20
	v_cndmask_b32_e64 v0, 0, 1, s[12:13]
	v_cmp_gt_i32_e64 s[4:5], s19, v20
	s_cselect_b64 s[16:17], -1, 0
	s_add_i32 s33, s19, 1
	s_mov_b64 s[20:21], 0
	v_cmp_ne_u32_e64 s[6:7], 1, v0
	s_branch .LBB21_132
.LBB21_131:                             ;   in Loop: Header=BB21_132 Depth=1
	v_add_u32_e32 v14, 1, v14
	v_cmp_ge_i32_e32 vcc, v14, v17
	s_or_b64 s[20:21], vcc, s[20:21]
	v_add_u32_e32 v22, s36, v22
	s_andn2_b64 exec, exec, s[20:21]
	s_cbranch_execz .LBB21_153
.LBB21_132:                             ; =>This Loop Header: Depth=1
                                        ;     Child Loop BB21_135 Depth 2
                                        ;       Child Loop BB21_138 Depth 3
                                        ;         Child Loop BB21_142 Depth 4
	s_and_b64 vcc, exec, s[6:7]
	s_cbranch_vccnz .LBB21_131
; %bb.133:                              ;   in Loop: Header=BB21_132 Depth=1
	v_mul_lo_u32 v23, v14, s19
	s_mov_b32 s37, 0
	v_mov_b32_e32 v24, v22
	v_mov_b32_e32 v25, v21
	s_branch .LBB21_135
.LBB21_134:                             ;   in Loop: Header=BB21_135 Depth=2
	s_or_b64 exec, exec, s[12:13]
	v_add_u32_e32 v25, s33, v25
	v_add_u32_e32 v24, s19, v24
	s_cmp_eq_u32 s38, s19
	s_mov_b32 s37, s38
	s_cbranch_scc1 .LBB21_131
.LBB21_135:                             ;   Parent Loop BB21_132 Depth=1
                                        ; =>  This Loop Header: Depth=2
                                        ;       Child Loop BB21_138 Depth 3
                                        ;         Child Loop BB21_142 Depth 4
	s_add_i32 s38, s37, 1
	s_and_saveexec_b64 s[12:13], s[4:5]
	s_cbranch_execz .LBB21_134
; %bb.136:                              ;   in Loop: Header=BB21_135 Depth=2
	s_cmp_lt_i32 s38, s19
	v_add_u32_e32 v0, s37, v15
	v_mul_lo_u32 v26, v0, s19
	v_add_u32_e32 v0, s37, v23
	s_cselect_b64 s[8:9], -1, 0
	v_mul_lo_u32 v27, v0, s19
	v_cndmask_b32_e64 v0, 0, 1, s[8:9]
	s_mov_b64 s[22:23], 0
	v_cmp_ne_u32_e64 s[8:9], 1, v0
	v_mov_b32_e32 v28, v24
	v_mov_b32_e32 v29, v20
	s_branch .LBB21_138
.LBB21_137:                             ;   in Loop: Header=BB21_138 Depth=3
	v_add_u32_e32 v29, 64, v29
	v_cmp_le_i32_e32 vcc, s19, v29
	s_or_b64 s[22:23], vcc, s[22:23]
	v_add_u32_e32 v28, 64, v28
	s_andn2_b64 exec, exec, s[22:23]
	s_cbranch_execz .LBB21_134
.LBB21_138:                             ;   Parent Loop BB21_132 Depth=1
                                        ;     Parent Loop BB21_135 Depth=2
                                        ; =>    This Loop Header: Depth=3
                                        ;         Child Loop BB21_142 Depth 4
	s_and_b64 vcc, exec, s[8:9]
	s_cbranch_vccnz .LBB21_137
; %bb.139:                              ;   in Loop: Header=BB21_138 Depth=3
	v_add_u32_e32 v0, v29, v23
	v_mul_lo_u32 v30, v0, s19
	v_add_u32_e32 v31, s37, v30
	v_add_u32_e32 v32, v29, v27
	s_mov_b32 s39, 0
	s_mov_b32 s40, s38
	s_branch .LBB21_142
.LBB21_140:                             ;   in Loop: Header=BB21_142 Depth=4
	v_mov_b32_e32 v12, v13
.LBB21_141:                             ;   in Loop: Header=BB21_142 Depth=4
	s_waitcnt vmcnt(0)
	v_fma_f64 v[8:9], -v[0:1], v[4:5], v[8:9]
	v_fmac_f64_e32 v[8:9], v[2:3], v[6:7]
	v_fma_f64 v[2:3], -v[2:3], v[4:5], v[10:11]
	v_ashrrev_i32_e32 v13, 31, v12
	v_fma_f64 v[10:11], -v[0:1], v[6:7], v[2:3]
	v_lshlrev_b64 v[0:1], 4, v[12:13]
	v_mov_b32_e32 v2, s25
	v_add_co_u32_e32 v0, vcc, s24, v0
	s_add_i32 s40, s40, 1
	s_add_i32 s39, s39, s19
	v_addc_co_u32_e32 v1, vcc, v2, v1, vcc
	s_cmp_ge_i32 s40, s19
	global_store_dwordx4 v[0:1], v[8:11], off
	s_cbranch_scc1 .LBB21_137
.LBB21_142:                             ;   Parent Loop BB21_132 Depth=1
                                        ;     Parent Loop BB21_135 Depth=2
                                        ;       Parent Loop BB21_138 Depth=3
                                        ; =>      This Inner Loop Header: Depth=4
	s_and_b64 vcc, exec, s[16:17]
	s_cbranch_vccz .LBB21_150
; %bb.143:                              ;   in Loop: Header=BB21_142 Depth=4
	v_add_u32_e32 v0, s40, v26
	v_mov_b32_e32 v2, v31
	s_cbranch_execnz .LBB21_145
.LBB21_144:                             ;   in Loop: Header=BB21_142 Depth=4
	v_add_u32_e32 v0, s39, v25
	v_mov_b32_e32 v2, v32
.LBB21_145:                             ;   in Loop: Header=BB21_142 Depth=4
	v_ashrrev_i32_e32 v1, 31, v0
	v_lshlrev_b64 v[0:1], 4, v[0:1]
	v_mov_b32_e32 v3, s25
	v_add_co_u32_e32 v8, vcc, s24, v0
	v_addc_co_u32_e32 v9, vcc, v3, v1, vcc
	v_ashrrev_i32_e32 v3, 31, v2
	v_lshlrev_b64 v[0:1], 4, v[2:3]
	v_mov_b32_e32 v2, s25
	v_add_co_u32_e32 v10, vcc, s24, v0
	v_addc_co_u32_e32 v11, vcc, v2, v1, vcc
	global_load_dwordx4 v[0:3], v[8:9], off
	global_load_dwordx4 v[4:7], v[10:11], off
	s_and_b64 vcc, exec, s[16:17]
	v_add_u32_e32 v12, s40, v30
	s_cbranch_vccz .LBB21_151
; %bb.146:                              ;   in Loop: Header=BB21_142 Depth=4
	v_add_u32_e32 v8, s40, v30
	v_add_u32_e32 v13, s39, v28
	s_cbranch_execnz .LBB21_148
.LBB21_147:                             ;   in Loop: Header=BB21_142 Depth=4
	v_add_u32_e32 v8, s39, v28
.LBB21_148:                             ;   in Loop: Header=BB21_142 Depth=4
	v_ashrrev_i32_e32 v9, 31, v8
	v_lshlrev_b64 v[8:9], 4, v[8:9]
	v_mov_b32_e32 v10, s25
	v_add_co_u32_e32 v8, vcc, s24, v8
	v_addc_co_u32_e32 v9, vcc, v10, v9, vcc
	global_load_dwordx4 v[8:11], v[8:9], off
	s_and_b64 vcc, exec, s[16:17]
	s_cbranch_vccz .LBB21_152
; %bb.149:                              ;   in Loop: Header=BB21_142 Depth=4
	s_cbranch_execnz .LBB21_141
	s_branch .LBB21_140
.LBB21_150:                             ;   in Loop: Header=BB21_142 Depth=4
                                        ; implicit-def: $vgpr0
	v_mov_b32_e32 v2, v31
	s_branch .LBB21_144
.LBB21_151:                             ;   in Loop: Header=BB21_142 Depth=4
                                        ; implicit-def: $vgpr8
	v_add_u32_e32 v13, s39, v28
	s_branch .LBB21_147
.LBB21_152:                             ;   in Loop: Header=BB21_142 Depth=4
                                        ; implicit-def: $vgpr12
	s_branch .LBB21_140
.LBB21_153:
	s_or_b64 exec, exec, s[14:15]
	s_orn2_b64 s[6:7], s[10:11], exec
.LBB21_154:
	s_or_b64 exec, exec, s[30:31]
	v_cmp_eq_u32_e32 vcc, 0, v20
	s_and_b64 exec, exec, vcc
	s_cbranch_execz .LBB21_160
; %bb.155:
	v_mov_b32_e32 v1, s29
	v_add_co_u32_e32 v0, vcc, s28, v18
	v_addc_co_u32_e32 v1, vcc, v1, v19, vcc
	v_mov_b32_e32 v2, 1
	s_waitcnt vmcnt(0)
	global_store_dword v[0:1], v2, off
	s_and_b64 exec, exec, s[6:7]
	s_cbranch_execz .LBB21_160
; %bb.156:
	s_mov_b64 s[4:5], exec
	v_add_u32_e32 v0, s18, v16
	s_brev_b32 s6, -2
.LBB21_157:                             ; =>This Inner Loop Header: Depth=1
	s_ff1_i32_b64 s7, s[4:5]
	v_readlane_b32 s10, v0, s7
	s_lshl_b64 s[8:9], 1, s7
	s_min_i32 s6, s6, s10
	s_andn2_b64 s[4:5], s[4:5], s[8:9]
	s_cmp_lg_u64 s[4:5], 0
	s_cbranch_scc1 .LBB21_157
; %bb.158:
	v_mbcnt_lo_u32_b32 v0, exec_lo, 0
	v_mbcnt_hi_u32_b32 v0, exec_hi, v0
	v_cmp_eq_u32_e32 vcc, 0, v0
	s_and_saveexec_b64 s[4:5], vcc
	s_xor_b64 s[4:5], exec, s[4:5]
	s_cbranch_execz .LBB21_160
; %bb.159:
	v_mov_b32_e32 v0, 0
	v_mov_b32_e32 v1, s6
	global_atomic_smin v0, v1, s[34:35]
.LBB21_160:
	s_endpgm
	.section	.rodata,"a",@progbits
	.p2align	6, 0x0
	.amdhsa_kernel _ZN9rocsparseL15bsrilu0_generalILj128ELj64ELb1E21rocsparse_complex_numIdEEEv20rocsparse_direction_iPKiS5_PT2_S5_iPiS5_S8_21rocsparse_index_base_imNS_24const_host_device_scalarIfEENSA_IdEENSA_IS6_EEb
		.amdhsa_group_segment_fixed_size 0
		.amdhsa_private_segment_fixed_size 48
		.amdhsa_kernarg_size 124
		.amdhsa_user_sgpr_count 8
		.amdhsa_user_sgpr_private_segment_buffer 1
		.amdhsa_user_sgpr_dispatch_ptr 0
		.amdhsa_user_sgpr_queue_ptr 0
		.amdhsa_user_sgpr_kernarg_segment_ptr 1
		.amdhsa_user_sgpr_dispatch_id 0
		.amdhsa_user_sgpr_flat_scratch_init 1
		.amdhsa_user_sgpr_kernarg_preload_length 0
		.amdhsa_user_sgpr_kernarg_preload_offset 0
		.amdhsa_user_sgpr_private_segment_size 0
		.amdhsa_uses_dynamic_stack 0
		.amdhsa_system_sgpr_private_segment_wavefront_offset 1
		.amdhsa_system_sgpr_workgroup_id_x 1
		.amdhsa_system_sgpr_workgroup_id_y 0
		.amdhsa_system_sgpr_workgroup_id_z 0
		.amdhsa_system_sgpr_workgroup_info 0
		.amdhsa_system_vgpr_workitem_id 0
		.amdhsa_next_free_vgpr 49
		.amdhsa_next_free_sgpr 69
		.amdhsa_accum_offset 52
		.amdhsa_reserve_vcc 1
		.amdhsa_reserve_flat_scratch 1
		.amdhsa_float_round_mode_32 0
		.amdhsa_float_round_mode_16_64 0
		.amdhsa_float_denorm_mode_32 3
		.amdhsa_float_denorm_mode_16_64 3
		.amdhsa_dx10_clamp 1
		.amdhsa_ieee_mode 1
		.amdhsa_fp16_overflow 0
		.amdhsa_tg_split 0
		.amdhsa_exception_fp_ieee_invalid_op 0
		.amdhsa_exception_fp_denorm_src 0
		.amdhsa_exception_fp_ieee_div_zero 0
		.amdhsa_exception_fp_ieee_overflow 0
		.amdhsa_exception_fp_ieee_underflow 0
		.amdhsa_exception_fp_ieee_inexact 0
		.amdhsa_exception_int_div_zero 0
	.end_amdhsa_kernel
	.section	.text._ZN9rocsparseL15bsrilu0_generalILj128ELj64ELb1E21rocsparse_complex_numIdEEEv20rocsparse_direction_iPKiS5_PT2_S5_iPiS5_S8_21rocsparse_index_base_imNS_24const_host_device_scalarIfEENSA_IdEENSA_IS6_EEb,"axG",@progbits,_ZN9rocsparseL15bsrilu0_generalILj128ELj64ELb1E21rocsparse_complex_numIdEEEv20rocsparse_direction_iPKiS5_PT2_S5_iPiS5_S8_21rocsparse_index_base_imNS_24const_host_device_scalarIfEENSA_IdEENSA_IS6_EEb,comdat
.Lfunc_end21:
	.size	_ZN9rocsparseL15bsrilu0_generalILj128ELj64ELb1E21rocsparse_complex_numIdEEEv20rocsparse_direction_iPKiS5_PT2_S5_iPiS5_S8_21rocsparse_index_base_imNS_24const_host_device_scalarIfEENSA_IdEENSA_IS6_EEb, .Lfunc_end21-_ZN9rocsparseL15bsrilu0_generalILj128ELj64ELb1E21rocsparse_complex_numIdEEEv20rocsparse_direction_iPKiS5_PT2_S5_iPiS5_S8_21rocsparse_index_base_imNS_24const_host_device_scalarIfEENSA_IdEENSA_IS6_EEb
                                        ; -- End function
	.section	.AMDGPU.csdata,"",@progbits
; Kernel info:
; codeLenInByte = 4948
; NumSgprs: 75
; NumVgprs: 49
; NumAgprs: 0
; TotalNumVgprs: 49
; ScratchSize: 48
; MemoryBound: 0
; FloatMode: 240
; IeeeMode: 1
; LDSByteSize: 0 bytes/workgroup (compile time only)
; SGPRBlocks: 9
; VGPRBlocks: 6
; NumSGPRsForWavesPerEU: 75
; NumVGPRsForWavesPerEU: 49
; AccumOffset: 52
; Occupancy: 8
; WaveLimiterHint : 1
; COMPUTE_PGM_RSRC2:SCRATCH_EN: 1
; COMPUTE_PGM_RSRC2:USER_SGPR: 8
; COMPUTE_PGM_RSRC2:TRAP_HANDLER: 0
; COMPUTE_PGM_RSRC2:TGID_X_EN: 1
; COMPUTE_PGM_RSRC2:TGID_Y_EN: 0
; COMPUTE_PGM_RSRC2:TGID_Z_EN: 0
; COMPUTE_PGM_RSRC2:TIDIG_COMP_CNT: 0
; COMPUTE_PGM_RSRC3_GFX90A:ACCUM_OFFSET: 12
; COMPUTE_PGM_RSRC3_GFX90A:TG_SPLIT: 0
	.section	.text._ZN9rocsparseL15bsrilu0_generalILj128ELj32ELb0E21rocsparse_complex_numIdEEEv20rocsparse_direction_iPKiS5_PT2_S5_iPiS5_S8_21rocsparse_index_base_imNS_24const_host_device_scalarIfEENSA_IdEENSA_IS6_EEb,"axG",@progbits,_ZN9rocsparseL15bsrilu0_generalILj128ELj32ELb0E21rocsparse_complex_numIdEEEv20rocsparse_direction_iPKiS5_PT2_S5_iPiS5_S8_21rocsparse_index_base_imNS_24const_host_device_scalarIfEENSA_IdEENSA_IS6_EEb,comdat
	.globl	_ZN9rocsparseL15bsrilu0_generalILj128ELj32ELb0E21rocsparse_complex_numIdEEEv20rocsparse_direction_iPKiS5_PT2_S5_iPiS5_S8_21rocsparse_index_base_imNS_24const_host_device_scalarIfEENSA_IdEENSA_IS6_EEb ; -- Begin function _ZN9rocsparseL15bsrilu0_generalILj128ELj32ELb0E21rocsparse_complex_numIdEEEv20rocsparse_direction_iPKiS5_PT2_S5_iPiS5_S8_21rocsparse_index_base_imNS_24const_host_device_scalarIfEENSA_IdEENSA_IS6_EEb
	.p2align	8
	.type	_ZN9rocsparseL15bsrilu0_generalILj128ELj32ELb0E21rocsparse_complex_numIdEEEv20rocsparse_direction_iPKiS5_PT2_S5_iPiS5_S8_21rocsparse_index_base_imNS_24const_host_device_scalarIfEENSA_IdEENSA_IS6_EEb,@function
_ZN9rocsparseL15bsrilu0_generalILj128ELj32ELb0E21rocsparse_complex_numIdEEEv20rocsparse_direction_iPKiS5_PT2_S5_iPiS5_S8_21rocsparse_index_base_imNS_24const_host_device_scalarIfEENSA_IdEENSA_IS6_EEb: ; @_ZN9rocsparseL15bsrilu0_generalILj128ELj32ELb0E21rocsparse_complex_numIdEEEv20rocsparse_direction_iPKiS5_PT2_S5_iPiS5_S8_21rocsparse_index_base_imNS_24const_host_device_scalarIfEENSA_IdEENSA_IS6_EEb
; %bb.0:
	s_add_u32 flat_scratch_lo, s6, s9
	s_load_dword s6, s[4:5], 0x78
	s_load_dwordx8 s[36:43], s[4:5], 0x50
	s_load_dwordx2 s[10:11], s[4:5], 0x70
	s_load_dwordx2 s[34:35], s[4:5], 0x48
	s_addc_u32 flat_scratch_hi, s7, 0
	s_add_u32 s0, s0, s9
	s_addc_u32 s1, s1, 0
	s_waitcnt lgkmcnt(0)
	s_bitcmp1_b32 s6, 0
	s_cselect_b64 s[6:7], -1, 0
	s_cmp_lg_u32 s35, 0
	s_cselect_b64 s[12:13], -1, 0
	s_cmp_eq_u32 s35, 0
	s_cselect_b64 s[18:19], -1, 0
	s_and_b64 s[14:15], s[18:19], exec
	v_mov_b32_e32 v1, s42
	s_cselect_b32 s16, 0, s40
	s_cselect_b32 s17, 0, s41
	s_or_b64 s[20:21], s[18:19], s[6:7]
	buffer_store_dword v1, off, s[0:3], 0 offset:32
	v_mov_b32_e32 v1, s43
	s_xor_b64 s[14:15], s[20:21], -1
	s_and_b64 vcc, exec, s[20:21]
	buffer_store_dword v1, off, s[0:3], 0 offset:36
	s_cbranch_vccnz .LBB22_2
; %bb.1:
	s_load_dword s9, s[38:39], 0x0
	s_mov_b64 s[16:17], s[40:41]
	s_waitcnt lgkmcnt(0)
	v_mov_b32_e32 v21, s9
	s_andn2_b64 vcc, exec, s[14:15]
	v_pk_mov_b32 v[24:25], s[16:17], s[16:17] op_sel:[0,1]
	s_cbranch_vccz .LBB22_3
	s_branch .LBB22_4
.LBB22_2:
	v_mov_b32_e32 v1, s38
	v_cndmask_b32_e64 v21, v1, 0, s[18:19]
	s_andn2_b64 vcc, exec, s[14:15]
	v_pk_mov_b32 v[24:25], s[16:17], s[16:17] op_sel:[0,1]
	s_cbranch_vccnz .LBB22_4
.LBB22_3:
	v_pk_mov_b32 v[2:3], s[40:41], s[40:41] op_sel:[0,1]
	flat_load_dwordx2 v[24:25], v[2:3]
.LBB22_4:
	v_cndmask_b32_e64 v1, 0, 1, s[12:13]
	v_pk_mov_b32 v[2:3], 0, 0
	v_cmp_ne_u32_e64 s[18:19], 1, v1
	s_andn2_b64 vcc, exec, s[12:13]
	v_pk_mov_b32 v[4:5], v[2:3], v[2:3] op_sel:[0,1]
	s_cbranch_vccnz .LBB22_7
; %bb.5:
	s_xor_b64 s[14:15], s[6:7], -1
	s_mov_b64 s[12:13], src_private_base
	s_and_b64 s[16:17], s[6:7], exec
	s_cselect_b32 s9, s13, s43
	v_mov_b32_e32 v1, 32
	v_mov_b32_e32 v2, s42
	v_cndmask_b32_e64 v2, v2, v1, s[6:7]
	v_mov_b32_e32 v3, s9
	flat_load_dwordx2 v[2:3], v[2:3]
	s_andn2_b64 vcc, exec, s[14:15]
	v_pk_mov_b32 v[4:5], s[10:11], s[10:11] op_sel:[0,1]
	s_cbranch_vccnz .LBB22_7
; %bb.6:
	v_pk_mov_b32 v[4:5], s[42:43], s[42:43] op_sel:[0,1]
	flat_load_dwordx2 v[4:5], v[4:5] offset:8
.LBB22_7:
	s_load_dwordx2 s[40:41], s[4:5], 0x0
	s_lshl_b32 s6, s8, 2
	v_lshrrev_b32_e32 v1, 5, v0
	s_and_b32 s6, s6, 0x7fffffc
	v_or_b32_e32 v1, s6, v1
	s_waitcnt lgkmcnt(0)
	v_cmp_gt_i32_e32 vcc, s41, v1
	s_waitcnt vmcnt(0)
	buffer_store_dword v3, off, s[0:3], 0 offset:4
	buffer_store_dword v2, off, s[0:3], 0
	buffer_store_dword v5, off, s[0:3], 0 offset:12
	buffer_store_dword v4, off, s[0:3], 0 offset:8
	s_and_saveexec_b64 s[6:7], vcc
	s_cbranch_execz .LBB22_158
; %bb.8:
	s_load_dwordx4 s[28:31], s[4:5], 0x30
	s_load_dwordx2 s[38:39], s[4:5], 0x40
	v_lshlrev_b32_e32 v1, 2, v1
	s_load_dwordx8 s[20:27], s[4:5], 0x8
	v_and_b32_e32 v20, 31, v0
	s_waitcnt lgkmcnt(0)
	global_load_dword v16, v1, s[30:31]
	s_mov_b64 s[6:7], -1
	v_mov_b32_e32 v1, s27
	s_waitcnt vmcnt(0)
	v_ashrrev_i32_e32 v17, 31, v16
	v_lshlrev_b64 v[18:19], 2, v[16:17]
	v_add_co_u32_e32 v2, vcc, s26, v18
	v_addc_co_u32_e32 v3, vcc, v1, v19, vcc
	global_load_dword v22, v[2:3], off
	s_waitcnt vmcnt(0)
	v_cmp_ne_u32_e32 vcc, -1, v22
	s_and_saveexec_b64 s[30:31], vcc
	s_cbranch_execz .LBB22_152
; %bb.9:
	v_mov_b32_e32 v1, s21
	v_add_co_u32_e32 v0, vcc, s20, v18
	v_addc_co_u32_e32 v1, vcc, v1, v19, vcc
	global_load_dwordx2 v[0:1], v[0:1], off
	s_load_dword s33, s[4:5], 0x28
	s_mov_b64 s[10:11], 0
	s_waitcnt vmcnt(0)
	v_subrev_u32_e32 v26, s34, v0
	v_subrev_u32_e32 v17, s34, v1
	v_cmp_lt_i32_e32 vcc, v26, v22
	s_and_saveexec_b64 s[4:5], vcc
	s_cbranch_execz .LBB22_81
; %bb.10:
	v_add_u32_e32 v28, v26, v20
	s_waitcnt lgkmcnt(0)
	s_cmp_gt_i32 s33, 0
	v_ashrrev_i32_e32 v29, 31, v28
	s_cselect_b64 s[12:13], -1, 0
	s_cmp_lg_u32 s40, 0
	v_lshlrev_b64 v[0:1], 2, v[28:29]
	s_cselect_b64 s[42:43], -1, 0
	s_add_i32 s35, s41, 1
	v_mov_b32_e32 v23, s23
	v_add_co_u32_e32 v30, vcc, s22, v0
	v_addc_co_u32_e32 v31, vcc, v23, v1, vcc
	s_add_u32 s41, s20, 4
	v_mad_u64_u32 v[0:1], s[14:15], s33, v26, v[20:21]
	s_addc_u32 s64, s21, 0
	v_mul_lo_u32 v29, s33, v0
	v_cndmask_b32_e64 v0, 0, 1, s[12:13]
	s_add_u32 s65, s22, 0x80
	v_cmp_ne_u32_e64 s[12:13], 1, v0
	v_mbcnt_lo_u32_b32 v0, -1, 0
	v_cmp_gt_i32_e64 s[6:7], s33, v20
	v_cmp_le_i32_e64 s[8:9], s33, v20
	v_cmp_lt_i32_e64 s[10:11], v28, v17
	s_addc_u32 s66, s23, 0
	s_mul_i32 s67, s33, s33
	s_lshl_b32 s68, s33, 5
	s_mov_b64 s[48:49], 0
	s_mov_b64 s[20:21], 0
	v_mov_b32_e32 v33, s27
	v_mbcnt_hi_u32_b32 v37, -1, v0
                                        ; implicit-def: $sgpr44_sgpr45
                                        ; implicit-def: $sgpr46_sgpr47
	s_branch .LBB22_13
.LBB22_11:                              ;   in Loop: Header=BB22_13 Depth=1
	s_or_b64 exec, exec, s[16:17]
	s_andn2_b64 s[16:17], s[46:47], exec
	s_and_b64 s[46:47], s[48:49], exec
	s_or_b64 s[46:47], s[16:17], s[46:47]
.LBB22_12:                              ;   in Loop: Header=BB22_13 Depth=1
	s_or_b64 exec, exec, s[50:51]
	v_add_u32_e32 v26, 1, v26
	v_cmp_ge_i32_e32 vcc, v26, v22
	s_xor_b64 s[14:15], s[14:15], -1
	s_or_b64 s[14:15], s[14:15], vcc
	s_and_b64 s[14:15], exec, s[14:15]
	s_or_b64 s[20:21], s[14:15], s[20:21]
	s_andn2_b64 s[14:15], s[44:45], exec
	s_and_b64 s[16:17], s[46:47], exec
	v_add_u32_e32 v29, s67, v29
	s_or_b64 s[44:45], s[14:15], s[16:17]
	s_mov_b64 s[48:49], s[46:47]
	s_andn2_b64 exec, exec, s[20:21]
	s_cbranch_execz .LBB22_80
.LBB22_13:                              ; =>This Loop Header: Depth=1
                                        ;     Child Loop BB22_16 Depth 2
                                        ;     Child Loop BB22_21 Depth 2
                                        ;       Child Loop BB22_26 Depth 3
                                        ;         Child Loop BB22_36 Depth 4
                                        ;     Child Loop BB22_54 Depth 2
                                        ;       Child Loop BB22_59 Depth 3
                                        ;       Child Loop BB22_66 Depth 3
                                        ;         Child Loop BB22_69 Depth 4
                                        ;           Child Loop BB22_71 Depth 5
	v_ashrrev_i32_e32 v27, 31, v26
	s_waitcnt lgkmcnt(0)
	v_lshlrev_b64 v[0:1], 2, v[26:27]
	v_add_co_u32_e32 v0, vcc, s22, v0
	v_addc_co_u32_e32 v1, vcc, v23, v1, vcc
	global_load_dword v0, v[0:1], off
	s_or_b64 s[46:47], s[46:47], exec
	s_waitcnt vmcnt(0)
	v_subrev_u32_e32 v0, s34, v0
	v_ashrrev_i32_e32 v1, 31, v0
	v_lshlrev_b64 v[0:1], 2, v[0:1]
	v_add_co_u32_e32 v2, vcc, s26, v0
	v_addc_co_u32_e32 v3, vcc, v33, v1, vcc
	global_load_dword v40, v[2:3], off
	s_waitcnt vmcnt(0)
	v_cmp_ne_u32_e64 s[14:15], -1, v40
	s_and_saveexec_b64 s[50:51], s[14:15]
	s_cbranch_execz .LBB22_12
; %bb.14:                               ;   in Loop: Header=BB22_13 Depth=1
	v_mov_b32_e32 v3, s64
	v_add_co_u32_e32 v2, vcc, s41, v0
	v_addc_co_u32_e32 v3, vcc, v3, v1, vcc
	global_load_dword v41, v[2:3], off
	v_mov_b32_e32 v2, s29
	v_add_co_u32_e32 v0, vcc, s28, v0
	v_addc_co_u32_e32 v1, vcc, v2, v1, vcc
	global_load_dword v2, v[0:1], off glc
	s_waitcnt vmcnt(0)
	v_cmp_eq_u32_e32 vcc, 0, v2
	s_and_saveexec_b64 s[16:17], vcc
	s_cbranch_execz .LBB22_17
; %bb.15:                               ;   in Loop: Header=BB22_13 Depth=1
	s_mov_b64 s[52:53], 0
.LBB22_16:                              ;   Parent Loop BB22_13 Depth=1
                                        ; =>  This Inner Loop Header: Depth=2
	global_load_dword v2, v[0:1], off glc
	s_waitcnt vmcnt(0)
	v_cmp_ne_u32_e32 vcc, 0, v2
	s_or_b64 s[52:53], vcc, s[52:53]
	s_andn2_b64 exec, exec, s[52:53]
	s_cbranch_execnz .LBB22_16
.LBB22_17:                              ;   in Loop: Header=BB22_13 Depth=1
	s_or_b64 exec, exec, s[16:17]
	s_and_b64 vcc, exec, s[12:13]
	v_mul_lo_u32 v27, v26, s33
	buffer_wbinvl1_vol
	s_cbranch_vccnz .LBB22_50
; %bb.18:                               ;   in Loop: Header=BB22_13 Depth=1
	v_mul_lo_u32 v42, v40, s33
	s_mov_b64 s[52:53], 0
	v_mov_b32_e32 v32, 0
	s_branch .LBB22_21
.LBB22_19:                              ;   in Loop: Header=BB22_21 Depth=2
	s_or_b64 exec, exec, s[56:57]
	v_mov_b32_e32 v32, v43
.LBB22_20:                              ;   in Loop: Header=BB22_21 Depth=2
	s_or_b64 exec, exec, s[54:55]
	v_cmp_eq_u32_e32 vcc, s33, v32
	s_or_b64 s[52:53], vcc, s[52:53]
	s_andn2_b64 exec, exec, s[52:53]
	s_cbranch_execz .LBB22_49
.LBB22_21:                              ;   Parent Loop BB22_13 Depth=1
                                        ; =>  This Loop Header: Depth=2
                                        ;       Child Loop BB22_26 Depth 3
                                        ;         Child Loop BB22_36 Depth 4
	v_add_u32_e32 v43, 1, v32
	s_and_saveexec_b64 s[16:17], s[8:9]
	s_xor_b64 s[16:17], exec, s[16:17]
; %bb.22:                               ;   in Loop: Header=BB22_21 Depth=2
	v_add_u32_e32 v32, 1, v32
                                        ; implicit-def: $vgpr43
; %bb.23:                               ;   in Loop: Header=BB22_21 Depth=2
	s_andn2_saveexec_b64 s[54:55], s[16:17]
	s_cbranch_execz .LBB22_20
; %bb.24:                               ;   in Loop: Header=BB22_21 Depth=2
	v_add_u32_e32 v0, v32, v42
	v_mul_lo_u32 v44, v0, s33
	v_add_u32_e32 v0, v44, v32
	v_ashrrev_i32_e32 v1, 31, v0
	v_lshlrev_b64 v[0:1], 4, v[0:1]
	v_mov_b32_e32 v2, s25
	v_add_co_u32_e32 v0, vcc, s24, v0
	v_addc_co_u32_e32 v1, vcc, v2, v1, vcc
	global_load_dwordx4 v[0:3], v[0:1], off
	v_add_u32_e32 v10, v32, v27
	v_mul_lo_u32 v46, v10, s33
	v_cmp_gt_i32_e64 s[16:17], s33, v43
	s_mov_b64 s[56:57], 0
	v_mov_b32_e32 v45, v29
	v_mov_b32_e32 v36, v20
	s_waitcnt vmcnt(0)
	v_mul_f64 v[4:5], v[2:3], v[2:3]
	v_fmac_f64_e32 v[4:5], v[0:1], v[0:1]
	v_div_scale_f64 v[6:7], s[58:59], v[4:5], v[4:5], 1.0
	v_rcp_f64_e32 v[8:9], v[6:7]
	v_div_scale_f64 v[10:11], vcc, 1.0, v[4:5], 1.0
	v_fma_f64 v[12:13], -v[6:7], v[8:9], 1.0
	v_fmac_f64_e32 v[8:9], v[8:9], v[12:13]
	v_fma_f64 v[12:13], -v[6:7], v[8:9], 1.0
	v_fmac_f64_e32 v[8:9], v[8:9], v[12:13]
	v_mul_f64 v[12:13], v[10:11], v[8:9]
	v_fma_f64 v[6:7], -v[6:7], v[12:13], v[10:11]
	v_div_fmas_f64 v[6:7], v[6:7], v[8:9], v[12:13]
	v_div_fixup_f64 v[34:35], v[6:7], v[4:5], 1.0
	s_branch .LBB22_26
.LBB22_25:                              ;   in Loop: Header=BB22_26 Depth=3
	s_or_b64 exec, exec, s[58:59]
	v_add_u32_e32 v36, 32, v36
	v_cmp_le_i32_e32 vcc, s33, v36
	s_or_b64 s[56:57], vcc, s[56:57]
	v_add_u32_e32 v45, s68, v45
	s_andn2_b64 exec, exec, s[56:57]
	s_cbranch_execz .LBB22_19
.LBB22_26:                              ;   Parent Loop BB22_13 Depth=1
                                        ;     Parent Loop BB22_21 Depth=2
                                        ; =>    This Loop Header: Depth=3
                                        ;         Child Loop BB22_36 Depth 4
	s_and_b64 vcc, exec, s[42:43]
	v_add_u32_e32 v10, v36, v46
	s_cbranch_vccz .LBB22_47
; %bb.27:                               ;   in Loop: Header=BB22_26 Depth=3
	v_add_u32_e32 v4, v36, v46
	v_add_u32_e32 v11, v36, v27
	s_cbranch_execnz .LBB22_29
.LBB22_28:                              ;   in Loop: Header=BB22_26 Depth=3
	v_mad_u64_u32 v[4:5], s[58:59], v11, s33, v[32:33]
.LBB22_29:                              ;   in Loop: Header=BB22_26 Depth=3
	v_ashrrev_i32_e32 v5, 31, v4
	v_lshlrev_b64 v[4:5], 4, v[4:5]
	v_mov_b32_e32 v6, s25
	v_add_co_u32_e32 v4, vcc, s24, v4
	v_addc_co_u32_e32 v5, vcc, v6, v5, vcc
	global_load_dwordx4 v[6:9], v[4:5], off
	s_and_b64 vcc, exec, s[42:43]
	s_cbranch_vccz .LBB22_48
; %bb.30:                               ;   in Loop: Header=BB22_26 Depth=3
	s_cbranch_execnz .LBB22_32
.LBB22_31:                              ;   in Loop: Header=BB22_26 Depth=3
	v_mad_u64_u32 v[10:11], s[58:59], v11, s33, v[32:33]
.LBB22_32:                              ;   in Loop: Header=BB22_26 Depth=3
	s_waitcnt vmcnt(0)
	v_mul_f64 v[4:5], v[2:3], v[8:9]
	v_fmac_f64_e32 v[4:5], v[6:7], v[0:1]
	v_mul_f64 v[6:7], v[2:3], -v[6:7]
	v_ashrrev_i32_e32 v11, 31, v10
	v_fmac_f64_e32 v[6:7], v[8:9], v[0:1]
	v_lshlrev_b64 v[8:9], 4, v[10:11]
	v_mov_b32_e32 v10, s25
	v_add_co_u32_e32 v8, vcc, s24, v8
	v_mul_f64 v[4:5], v[34:35], v[4:5]
	v_mul_f64 v[6:7], v[34:35], v[6:7]
	v_addc_co_u32_e32 v9, vcc, v10, v9, vcc
	global_store_dwordx4 v[8:9], v[4:7], off
	s_and_saveexec_b64 s[58:59], s[16:17]
	s_cbranch_execz .LBB22_25
; %bb.33:                               ;   in Loop: Header=BB22_26 Depth=3
	s_mov_b64 s[60:61], 0
	v_mov_b32_e32 v47, v43
	s_branch .LBB22_36
.LBB22_34:                              ;   in Loop: Header=BB22_36 Depth=4
	v_mov_b32_e32 v38, v48
.LBB22_35:                              ;   in Loop: Header=BB22_36 Depth=4
	s_waitcnt vmcnt(0)
	v_fma_f64 v[12:13], -v[4:5], v[8:9], v[12:13]
	v_fma_f64 v[8:9], -v[6:7], v[8:9], v[14:15]
	v_ashrrev_i32_e32 v39, 31, v38
	v_fma_f64 v[14:15], -v[4:5], v[10:11], v[8:9]
	v_lshlrev_b64 v[8:9], 4, v[38:39]
	v_fmac_f64_e32 v[12:13], v[6:7], v[10:11]
	v_mov_b32_e32 v10, s25
	v_add_co_u32_e32 v8, vcc, s24, v8
	v_addc_co_u32_e32 v9, vcc, v10, v9, vcc
	v_add_u32_e32 v47, 1, v47
	v_cmp_le_i32_e32 vcc, s33, v47
	s_or_b64 s[60:61], vcc, s[60:61]
	global_store_dwordx4 v[8:9], v[12:15], off
	s_andn2_b64 exec, exec, s[60:61]
	s_cbranch_execz .LBB22_25
.LBB22_36:                              ;   Parent Loop BB22_13 Depth=1
                                        ;     Parent Loop BB22_21 Depth=2
                                        ;       Parent Loop BB22_26 Depth=3
                                        ; =>      This Inner Loop Header: Depth=4
	s_and_b64 vcc, exec, s[42:43]
	s_cbranch_vccz .LBB22_44
; %bb.37:                               ;   in Loop: Header=BB22_36 Depth=4
	v_add_u32_e32 v8, v47, v42
	v_mad_u64_u32 v[8:9], s[62:63], v8, s33, v[32:33]
	s_cbranch_execnz .LBB22_39
.LBB22_38:                              ;   in Loop: Header=BB22_36 Depth=4
	v_add_u32_e32 v8, v44, v47
.LBB22_39:                              ;   in Loop: Header=BB22_36 Depth=4
	v_ashrrev_i32_e32 v9, 31, v8
	v_lshlrev_b64 v[8:9], 4, v[8:9]
	v_mov_b32_e32 v10, s25
	v_add_co_u32_e32 v8, vcc, s24, v8
	v_addc_co_u32_e32 v9, vcc, v10, v9, vcc
	global_load_dwordx4 v[8:11], v[8:9], off
	s_and_b64 vcc, exec, s[42:43]
	v_add_u32_e32 v38, v47, v27
	s_cbranch_vccz .LBB22_45
; %bb.40:                               ;   in Loop: Header=BB22_36 Depth=4
	v_mad_u64_u32 v[12:13], s[62:63], v38, s33, v[36:37]
	v_add_u32_e32 v48, v45, v47
	s_cbranch_execnz .LBB22_42
.LBB22_41:                              ;   in Loop: Header=BB22_36 Depth=4
	v_add_u32_e32 v12, v45, v47
.LBB22_42:                              ;   in Loop: Header=BB22_36 Depth=4
	v_ashrrev_i32_e32 v13, 31, v12
	v_lshlrev_b64 v[12:13], 4, v[12:13]
	v_mov_b32_e32 v14, s25
	v_add_co_u32_e32 v12, vcc, s24, v12
	v_addc_co_u32_e32 v13, vcc, v14, v13, vcc
	global_load_dwordx4 v[12:15], v[12:13], off
	s_and_b64 vcc, exec, s[42:43]
	s_cbranch_vccz .LBB22_46
; %bb.43:                               ;   in Loop: Header=BB22_36 Depth=4
	v_mad_u64_u32 v[38:39], s[62:63], v38, s33, v[36:37]
	s_cbranch_execnz .LBB22_35
	s_branch .LBB22_34
.LBB22_44:                              ;   in Loop: Header=BB22_36 Depth=4
                                        ; implicit-def: $vgpr8
	s_branch .LBB22_38
.LBB22_45:                              ;   in Loop: Header=BB22_36 Depth=4
                                        ; implicit-def: $vgpr12
	v_add_u32_e32 v48, v45, v47
	s_branch .LBB22_41
.LBB22_46:                              ;   in Loop: Header=BB22_36 Depth=4
                                        ; implicit-def: $vgpr38
	s_branch .LBB22_34
.LBB22_47:                              ;   in Loop: Header=BB22_26 Depth=3
                                        ; implicit-def: $vgpr4
	v_add_u32_e32 v11, v36, v27
	s_branch .LBB22_28
.LBB22_48:                              ;   in Loop: Header=BB22_26 Depth=3
                                        ; implicit-def: $vgpr10
	s_branch .LBB22_31
.LBB22_49:                              ;   in Loop: Header=BB22_13 Depth=1
	s_or_b64 exec, exec, s[52:53]
.LBB22_50:                              ;   in Loop: Header=BB22_13 Depth=1
	v_subrev_u32_e32 v7, s34, v41
	v_add_u32_e32 v4, 1, v40
	v_cmp_lt_i32_e32 vcc, v4, v7
	s_and_saveexec_b64 s[16:17], vcc
	s_cbranch_execz .LBB22_11
; %bb.51:                               ;   in Loop: Header=BB22_13 Depth=1
	v_mul_lo_u32 v14, s67, v4
	s_mov_b64 s[52:53], 0
	s_branch .LBB22_54
.LBB22_52:                              ;   in Loop: Header=BB22_54 Depth=2
	s_or_b64 exec, exec, s[54:55]
.LBB22_53:                              ;   in Loop: Header=BB22_54 Depth=2
	v_add_u32_e32 v4, 1, v4
	v_cmp_ge_i32_e32 vcc, v4, v7
	s_or_b64 s[52:53], vcc, s[52:53]
	v_add_u32_e32 v14, s67, v14
	s_andn2_b64 exec, exec, s[52:53]
	s_cbranch_execz .LBB22_11
.LBB22_54:                              ;   Parent Loop BB22_13 Depth=1
                                        ; =>  This Loop Header: Depth=2
                                        ;       Child Loop BB22_59 Depth 3
                                        ;       Child Loop BB22_66 Depth 3
                                        ;         Child Loop BB22_69 Depth 4
                                        ;           Child Loop BB22_71 Depth 5
	v_ashrrev_i32_e32 v5, 31, v4
	s_waitcnt lgkmcnt(0)
	v_lshlrev_b64 v[0:1], 2, v[4:5]
	v_mov_b32_e32 v2, s23
	v_add_co_u32_e32 v0, vcc, s22, v0
	v_addc_co_u32_e32 v1, vcc, v2, v1, vcc
	global_load_dword v0, v[0:1], off
	v_mov_b32_e32 v1, s35
	s_and_saveexec_b64 s[54:55], s[10:11]
	s_cbranch_execz .LBB22_56
; %bb.55:                               ;   in Loop: Header=BB22_54 Depth=2
	global_load_dword v1, v[30:31], off
	s_waitcnt vmcnt(0)
	v_subrev_u32_e32 v1, s34, v1
.LBB22_56:                              ;   in Loop: Header=BB22_54 Depth=2
	s_or_b64 exec, exec, s[54:55]
	s_waitcnt vmcnt(0)
	v_subrev_u32_e32 v2, s34, v0
	v_cmp_lt_i32_e32 vcc, v1, v2
	v_mov_b32_e32 v3, v28
	s_and_saveexec_b64 s[54:55], vcc
	s_cbranch_execz .LBB22_62
; %bb.57:                               ;   in Loop: Header=BB22_54 Depth=2
	s_mov_b64 s[56:57], 0
	v_mov_b32_e32 v0, v28
	s_branch .LBB22_59
.LBB22_58:                              ;   in Loop: Header=BB22_59 Depth=3
	s_or_b64 exec, exec, s[58:59]
	v_cmp_ge_i32_e32 vcc, v1, v2
	s_or_b64 s[56:57], vcc, s[56:57]
	v_mov_b32_e32 v0, v3
	s_andn2_b64 exec, exec, s[56:57]
	s_cbranch_execz .LBB22_61
.LBB22_59:                              ;   Parent Loop BB22_13 Depth=1
                                        ;     Parent Loop BB22_54 Depth=2
                                        ; =>    This Inner Loop Header: Depth=3
	v_add_u32_e32 v3, 32, v0
	v_cmp_lt_i32_e32 vcc, v3, v17
	v_mov_b32_e32 v1, s35
	s_and_saveexec_b64 s[58:59], vcc
	s_cbranch_execz .LBB22_58
; %bb.60:                               ;   in Loop: Header=BB22_59 Depth=3
	v_ashrrev_i32_e32 v1, 31, v0
	v_lshlrev_b64 v[0:1], 2, v[0:1]
	v_mov_b32_e32 v5, s66
	v_add_co_u32_e32 v0, vcc, s65, v0
	v_addc_co_u32_e32 v1, vcc, v5, v1, vcc
	global_load_dword v0, v[0:1], off
	s_waitcnt vmcnt(0)
	v_subrev_u32_e32 v1, s34, v0
	s_branch .LBB22_58
.LBB22_61:                              ;   in Loop: Header=BB22_54 Depth=2
	s_or_b64 exec, exec, s[56:57]
.LBB22_62:                              ;   in Loop: Header=BB22_54 Depth=2
	s_or_b64 exec, exec, s[54:55]
	v_cmp_eq_u32_e32 vcc, v1, v2
	s_cbranch_vccz .LBB22_53
; %bb.63:                               ;   in Loop: Header=BB22_54 Depth=2
	s_ff1_i32_b64 s27, vcc
	v_and_or_b32 v0, v37, 64, s27
	v_lshlrev_b32_e32 v0, 2, v0
	ds_bpermute_b32 v0, v0, v3
	s_and_saveexec_b64 s[54:55], s[6:7]
	s_cbranch_execz .LBB22_52
; %bb.64:                               ;   in Loop: Header=BB22_54 Depth=2
	v_mul_lo_u32 v5, v4, s33
	s_waitcnt lgkmcnt(0)
	v_mul_lo_u32 v15, v0, s33
	s_mov_b64 s[56:57], 0
	v_mov_b32_e32 v32, v29
	v_mov_b32_e32 v6, v20
	s_branch .LBB22_66
.LBB22_65:                              ;   in Loop: Header=BB22_66 Depth=3
	v_add_u32_e32 v6, 32, v6
	v_cmp_le_i32_e32 vcc, s33, v6
	s_or_b64 s[56:57], vcc, s[56:57]
	v_add_u32_e32 v32, s68, v32
	s_andn2_b64 exec, exec, s[56:57]
	s_cbranch_execz .LBB22_52
.LBB22_66:                              ;   Parent Loop BB22_13 Depth=1
                                        ;     Parent Loop BB22_54 Depth=2
                                        ; =>    This Loop Header: Depth=3
                                        ;         Child Loop BB22_69 Depth 4
                                        ;           Child Loop BB22_71 Depth 5
	v_add_u32_e32 v0, v6, v15
	v_mul_lo_u32 v34, v0, s33
	s_mov_b32 s27, 0
	v_mov_b32_e32 v35, v14
	s_branch .LBB22_69
.LBB22_67:                              ;   in Loop: Header=BB22_69 Depth=4
	v_add_u32_e32 v0, s27, v34
.LBB22_68:                              ;   in Loop: Header=BB22_69 Depth=4
	v_ashrrev_i32_e32 v1, 31, v0
	v_lshlrev_b64 v[0:1], 4, v[0:1]
	v_mov_b32_e32 v2, s25
	v_add_co_u32_e32 v12, vcc, s24, v0
	v_addc_co_u32_e32 v13, vcc, v2, v1, vcc
	global_load_dwordx4 v[0:3], v[12:13], off
	s_add_i32 s27, s27, 1
	s_cmp_eq_u32 s27, s33
	v_add_u32_e32 v35, 1, v35
	s_waitcnt vmcnt(0)
	v_add_f64 v[0:1], v[0:1], -v[8:9]
	v_add_f64 v[2:3], v[2:3], -v[10:11]
	global_store_dwordx4 v[12:13], v[0:3], off
	s_cbranch_scc1 .LBB22_65
.LBB22_69:                              ;   Parent Loop BB22_13 Depth=1
                                        ;     Parent Loop BB22_54 Depth=2
                                        ;       Parent Loop BB22_66 Depth=3
                                        ; =>      This Loop Header: Depth=4
                                        ;           Child Loop BB22_71 Depth 5
	v_add_u32_e32 v0, s27, v5
	v_pk_mov_b32 v[8:9], 0, 0
	v_mul_lo_u32 v36, v0, s33
	v_mov_b32_e32 v38, v35
	s_mov_b32 s60, 0
	v_pk_mov_b32 v[10:11], v[8:9], v[8:9] op_sel:[0,1]
	s_branch .LBB22_71
.LBB22_70:                              ;   in Loop: Header=BB22_71 Depth=5
	v_ashrrev_i32_e32 v13, 31, v12
	v_lshlrev_b64 v[12:13], 4, v[12:13]
	v_mov_b32_e32 v39, s25
	v_add_co_u32_e32 v12, vcc, s24, v12
	v_addc_co_u32_e32 v13, vcc, v39, v13, vcc
	global_load_dwordx4 v[40:43], v[12:13], off
	s_add_i32 s60, s60, 1
	s_cmp_eq_u32 s33, s60
	v_add_u32_e32 v38, s33, v38
	s_waitcnt vmcnt(0)
	v_fmac_f64_e32 v[8:9], v[0:1], v[40:41]
	v_fmac_f64_e32 v[10:11], v[2:3], v[40:41]
	v_fma_f64 v[8:9], -v[2:3], v[42:43], v[8:9]
	v_fmac_f64_e32 v[10:11], v[0:1], v[42:43]
	s_cbranch_scc1 .LBB22_77
.LBB22_71:                              ;   Parent Loop BB22_13 Depth=1
                                        ;     Parent Loop BB22_54 Depth=2
                                        ;       Parent Loop BB22_66 Depth=3
                                        ;         Parent Loop BB22_69 Depth=4
                                        ; =>        This Inner Loop Header: Depth=5
	s_and_b64 vcc, exec, s[42:43]
	s_cbranch_vccz .LBB22_76
; %bb.72:                               ;   in Loop: Header=BB22_71 Depth=5
	v_add_u32_e32 v0, s60, v27
	v_mad_u64_u32 v[0:1], s[58:59], v0, s33, v[6:7]
	s_cbranch_execnz .LBB22_74
.LBB22_73:                              ;   in Loop: Header=BB22_71 Depth=5
	v_add_u32_e32 v0, s60, v32
.LBB22_74:                              ;   in Loop: Header=BB22_71 Depth=5
	v_ashrrev_i32_e32 v1, 31, v0
	v_lshlrev_b64 v[0:1], 4, v[0:1]
	v_mov_b32_e32 v2, s25
	v_add_co_u32_e32 v0, vcc, s24, v0
	v_addc_co_u32_e32 v1, vcc, v2, v1, vcc
	global_load_dwordx4 v[0:3], v[0:1], off
	s_andn2_b64 vcc, exec, s[42:43]
	v_mov_b32_e32 v12, v38
	s_cbranch_vccnz .LBB22_70
; %bb.75:                               ;   in Loop: Header=BB22_71 Depth=5
	v_add_u32_e32 v12, s60, v36
	s_branch .LBB22_70
.LBB22_76:                              ;   in Loop: Header=BB22_71 Depth=5
                                        ; implicit-def: $vgpr0
	s_branch .LBB22_73
.LBB22_77:                              ;   in Loop: Header=BB22_69 Depth=4
	s_and_b64 vcc, exec, s[42:43]
	s_cbranch_vccz .LBB22_79
; %bb.78:                               ;   in Loop: Header=BB22_69 Depth=4
	v_add_u32_e32 v0, s27, v15
	v_mad_u64_u32 v[0:1], s[58:59], v0, s33, v[6:7]
	s_cbranch_execnz .LBB22_68
	s_branch .LBB22_67
.LBB22_79:                              ;   in Loop: Header=BB22_69 Depth=4
                                        ; implicit-def: $vgpr0
	s_branch .LBB22_67
.LBB22_80:
	s_or_b64 exec, exec, s[20:21]
	s_and_b64 s[10:11], s[44:45], exec
.LBB22_81:
	s_or_b64 exec, exec, s[4:5]
	v_ashrrev_i32_e32 v23, 31, v22
	s_waitcnt lgkmcnt(0)
	v_lshlrev_b64 v[0:1], 2, v[22:23]
	v_mov_b32_e32 v2, s23
	v_add_co_u32_e32 v0, vcc, s22, v0
	v_addc_co_u32_e32 v1, vcc, v2, v1, vcc
	global_load_dword v0, v[0:1], off
	s_cmp_gt_i32 s33, 0
	s_cselect_b64 s[12:13], -1, 0
	s_waitcnt vmcnt(0)
	v_subrev_u32_e32 v0, s34, v0
	v_cmp_eq_u32_e32 vcc, v0, v16
	s_and_b64 s[4:5], s[12:13], vcc
	s_and_saveexec_b64 s[14:15], s[4:5]
	s_cbranch_execz .LBB22_127
; %bb.82:
	s_cmp_eq_u64 s[36:37], 8
	v_cvt_f64_f32_e32 v[0:1], v21
	s_cselect_b64 vcc, -1, 0
	s_cmp_lg_u32 s40, 0
	v_mul_lo_u32 v15, v22, s33
	s_mov_b32 s22, 0
	v_cndmask_b32_e32 v13, v1, v25, vcc
	v_cndmask_b32_e32 v12, v0, v24, vcc
	s_cselect_b64 s[16:17], -1, 0
	v_cmp_eq_u32_e64 s[6:7], 0, v20
	v_add3_u32 v21, v15, v20, 1
	s_lshl_b32 s35, s33, 5
	s_mov_b64 s[20:21], 0
	v_mov_b32_e32 v14, 0
	v_mov_b32_e32 v23, s25
	s_brev_b32 s23, 8
	v_mov_b32_e32 v25, 0x260
	v_mov_b32_e32 v34, 0
	;; [unrolled: 1-line block ×4, first 2 shown]
	s_mov_b64 s[36:37], s[10:11]
                                        ; implicit-def: $sgpr26_sgpr27
	s_branch .LBB22_84
.LBB22_83:                              ;   in Loop: Header=BB22_84 Depth=1
	s_or_b64 exec, exec, s[8:9]
	v_cmp_eq_u32_e32 vcc, s33, v38
	s_or_b64 s[20:21], vcc, s[20:21]
	s_andn2_b64 s[4:5], s[26:27], exec
	s_and_b64 s[8:9], s[36:37], exec
	s_or_b64 s[26:27], s[4:5], s[8:9]
	v_mov_b32_e32 v14, v38
	s_andn2_b64 exec, exec, s[20:21]
	s_cbranch_execz .LBB22_126
.LBB22_84:                              ; =>This Loop Header: Depth=1
                                        ;     Child Loop BB22_100 Depth 2
                                        ;       Child Loop BB22_110 Depth 3
	v_add_u32_e32 v0, v14, v15
	v_mul_lo_u32 v37, v0, s33
	v_add_u32_e32 v0, v37, v14
	v_ashrrev_i32_e32 v1, 31, v0
	v_lshlrev_b64 v[0:1], 4, v[0:1]
	v_add_co_u32_e32 v4, vcc, s24, v0
	v_addc_co_u32_e32 v5, vcc, v23, v1, vcc
	global_load_dwordx4 v[0:3], v[4:5], off
	s_mov_b64 s[42:43], -1
	s_and_b64 vcc, exec, s[18:19]
	s_mov_b64 s[8:9], 0
	s_waitcnt vmcnt(0)
	buffer_store_dword v3, off, s[0:3], 0 offset:28
	buffer_store_dword v2, off, s[0:3], 0 offset:24
	;; [unrolled: 1-line block ×4, first 2 shown]
	s_cbranch_vccnz .LBB22_94
; %bb.85:                               ;   in Loop: Header=BB22_84 Depth=1
	v_xor_b32_e32 v6, 0x80000000, v1
	v_cmp_gt_f64_e32 vcc, 0, v[0:1]
	v_cndmask_b32_e32 v7, v1, v6, vcc
	v_cndmask_b32_e32 v6, v0, v0, vcc
	v_xor_b32_e32 v8, 0x80000000, v3
	v_cmp_gt_f64_e32 vcc, 0, v[2:3]
	v_cndmask_b32_e32 v9, v3, v8, vcc
	v_cndmask_b32_e32 v8, v2, v2, vcc
	v_cmp_ngt_f64_e32 vcc, v[6:7], v[8:9]
                                        ; implicit-def: $vgpr10_vgpr11
	s_and_saveexec_b64 s[4:5], vcc
	s_xor_b64 s[4:5], exec, s[4:5]
	s_cbranch_execz .LBB22_89
; %bb.86:                               ;   in Loop: Header=BB22_84 Depth=1
	v_cmp_neq_f64_e32 vcc, 0, v[2:3]
	v_pk_mov_b32 v[10:11], 0, 0
	s_and_saveexec_b64 s[8:9], vcc
	s_cbranch_execz .LBB22_88
; %bb.87:                               ;   in Loop: Header=BB22_84 Depth=1
	v_div_scale_f64 v[10:11], s[42:43], v[8:9], v[8:9], v[6:7]
	v_rcp_f64_e32 v[26:27], v[10:11]
	v_div_scale_f64 v[28:29], vcc, v[6:7], v[8:9], v[6:7]
	v_fma_f64 v[30:31], -v[10:11], v[26:27], 1.0
	v_fmac_f64_e32 v[26:27], v[26:27], v[30:31]
	v_fma_f64 v[30:31], -v[10:11], v[26:27], 1.0
	v_fmac_f64_e32 v[26:27], v[26:27], v[30:31]
	v_mul_f64 v[30:31], v[28:29], v[26:27]
	v_fma_f64 v[10:11], -v[10:11], v[30:31], v[28:29]
	v_div_fmas_f64 v[10:11], v[10:11], v[26:27], v[30:31]
	v_div_fixup_f64 v[6:7], v[10:11], v[8:9], v[6:7]
	v_fma_f64 v[6:7], v[6:7], v[6:7], 1.0
	v_cmp_gt_f64_e32 vcc, s[22:23], v[6:7]
	v_cndmask_b32_e64 v10, 0, 1, vcc
	v_lshlrev_b32_e32 v10, 8, v10
	v_ldexp_f64 v[6:7], v[6:7], v10
	v_rsq_f64_e32 v[10:11], v[6:7]
	v_mul_f64 v[26:27], v[6:7], v[10:11]
	v_mul_f64 v[10:11], v[10:11], 0.5
	v_fma_f64 v[28:29], -v[10:11], v[26:27], 0.5
	v_fmac_f64_e32 v[26:27], v[26:27], v[28:29]
	v_fma_f64 v[30:31], -v[26:27], v[26:27], v[6:7]
	v_fmac_f64_e32 v[10:11], v[10:11], v[28:29]
	v_fmac_f64_e32 v[26:27], v[30:31], v[10:11]
	v_fma_f64 v[28:29], -v[26:27], v[26:27], v[6:7]
	v_fmac_f64_e32 v[26:27], v[28:29], v[10:11]
	v_cndmask_b32_e32 v10, 0, v36, vcc
	v_ldexp_f64 v[10:11], v[26:27], v10
	v_cmp_class_f64_e32 vcc, v[6:7], v25
	v_cndmask_b32_e32 v7, v11, v7, vcc
	v_cndmask_b32_e32 v6, v10, v6, vcc
	v_mul_f64 v[10:11], v[8:9], v[6:7]
.LBB22_88:                              ;   in Loop: Header=BB22_84 Depth=1
	s_or_b64 exec, exec, s[8:9]
                                        ; implicit-def: $vgpr6_vgpr7
                                        ; implicit-def: $vgpr8_vgpr9
.LBB22_89:                              ;   in Loop: Header=BB22_84 Depth=1
	s_andn2_saveexec_b64 s[4:5], s[4:5]
	s_cbranch_execz .LBB22_91
; %bb.90:                               ;   in Loop: Header=BB22_84 Depth=1
	v_div_scale_f64 v[10:11], s[8:9], v[6:7], v[6:7], v[8:9]
	v_rcp_f64_e32 v[26:27], v[10:11]
	v_div_scale_f64 v[28:29], vcc, v[8:9], v[6:7], v[8:9]
	v_fma_f64 v[30:31], -v[10:11], v[26:27], 1.0
	v_fmac_f64_e32 v[26:27], v[26:27], v[30:31]
	v_fma_f64 v[30:31], -v[10:11], v[26:27], 1.0
	v_fmac_f64_e32 v[26:27], v[26:27], v[30:31]
	v_mul_f64 v[30:31], v[28:29], v[26:27]
	v_fma_f64 v[10:11], -v[10:11], v[30:31], v[28:29]
	v_div_fmas_f64 v[10:11], v[10:11], v[26:27], v[30:31]
	v_div_fixup_f64 v[8:9], v[10:11], v[6:7], v[8:9]
	v_fma_f64 v[8:9], v[8:9], v[8:9], 1.0
	v_cmp_gt_f64_e32 vcc, s[22:23], v[8:9]
	v_cndmask_b32_e64 v10, 0, 1, vcc
	v_lshlrev_b32_e32 v10, 8, v10
	v_ldexp_f64 v[8:9], v[8:9], v10
	v_rsq_f64_e32 v[10:11], v[8:9]
	v_mul_f64 v[26:27], v[8:9], v[10:11]
	v_mul_f64 v[10:11], v[10:11], 0.5
	v_fma_f64 v[28:29], -v[10:11], v[26:27], 0.5
	v_fmac_f64_e32 v[26:27], v[26:27], v[28:29]
	v_fma_f64 v[30:31], -v[26:27], v[26:27], v[8:9]
	v_fmac_f64_e32 v[10:11], v[10:11], v[28:29]
	v_fmac_f64_e32 v[26:27], v[30:31], v[10:11]
	v_fma_f64 v[28:29], -v[26:27], v[26:27], v[8:9]
	v_fmac_f64_e32 v[26:27], v[28:29], v[10:11]
	v_cndmask_b32_e32 v10, 0, v36, vcc
	v_ldexp_f64 v[10:11], v[26:27], v10
	v_cmp_class_f64_e32 vcc, v[8:9], v25
	v_cndmask_b32_e32 v9, v11, v9, vcc
	v_cndmask_b32_e32 v8, v10, v8, vcc
	v_mul_f64 v[10:11], v[6:7], v[8:9]
.LBB22_91:                              ;   in Loop: Header=BB22_84 Depth=1
	s_or_b64 exec, exec, s[4:5]
	v_cmp_le_f64_e32 vcc, v[10:11], v[12:13]
	v_cndmask_b32_e32 v6, v35, v34, vcc
	buffer_load_dword v7, v6, s[0:3], 0 offen
	buffer_load_dword v8, v6, s[0:3], 0 offen offset:4
	buffer_load_dword v9, v6, s[0:3], 0 offen offset:8
	;; [unrolled: 1-line block ×3, first 2 shown]
	s_waitcnt vmcnt(3)
	buffer_store_dword v7, off, s[0:3], 0 offset:16
	s_waitcnt vmcnt(3)
	buffer_store_dword v8, off, s[0:3], 0 offset:20
	;; [unrolled: 2-line block ×4, first 2 shown]
	s_and_saveexec_b64 s[4:5], s[6:7]
	s_cbranch_execz .LBB22_93
; %bb.92:                               ;   in Loop: Header=BB22_84 Depth=1
	buffer_load_dword v8, v6, s[0:3], 0 offen
	buffer_load_dword v9, v6, s[0:3], 0 offen offset:4
	buffer_load_dword v10, v6, s[0:3], 0 offen offset:8
	;; [unrolled: 1-line block ×3, first 2 shown]
	s_waitcnt vmcnt(0)
	global_store_dwordx4 v[4:5], v[8:11], off
.LBB22_93:                              ;   in Loop: Header=BB22_84 Depth=1
	s_or_b64 exec, exec, s[4:5]
	s_mov_b64 s[8:9], -1
	s_mov_b64 s[4:5], 0
	s_branch .LBB22_96
.LBB22_94:                              ;   in Loop: Header=BB22_84 Depth=1
	s_mov_b64 s[4:5], 0
	s_and_b64 vcc, exec, s[42:43]
	s_cbranch_vccz .LBB22_96
; %bb.95:                               ;   in Loop: Header=BB22_84 Depth=1
	v_cmp_neq_f64_e32 vcc, 0, v[0:1]
	v_cmp_neq_f64_e64 s[4:5], 0, v[2:3]
	s_or_b64 s[42:43], vcc, s[4:5]
	s_andn2_b64 s[8:9], s[8:9], exec
	s_and_b64 s[42:43], s[42:43], exec
	s_mov_b64 s[4:5], -1
	s_or_b64 s[8:9], s[8:9], s[42:43]
.LBB22_96:                              ;   in Loop: Header=BB22_84 Depth=1
                                        ; implicit-def: $sgpr44_sgpr45
                                        ; implicit-def: $vgpr38
	s_and_saveexec_b64 s[42:43], s[8:9]
	s_xor_b64 s[42:43], exec, s[42:43]
	s_cbranch_execz .LBB22_124
; %bb.97:                               ;   in Loop: Header=BB22_84 Depth=1
	v_add_u32_e32 v38, 1, v14
	v_add_u32_e32 v24, v38, v20
	v_cmp_gt_i32_e32 vcc, s33, v24
	s_and_saveexec_b64 s[44:45], vcc
	s_cbranch_execz .LBB22_123
; %bb.98:                               ;   in Loop: Header=BB22_84 Depth=1
	buffer_load_dword v26, off, s[0:3], 0 offset:24
	buffer_load_dword v27, off, s[0:3], 0 offset:28
	;; [unrolled: 1-line block ×4, first 2 shown]
	v_add_u32_e32 v6, v21, v14
	v_mul_lo_u32 v39, s33, v6
	v_cmp_gt_i32_e64 s[8:9], s33, v38
	s_waitcnt vmcnt(2)
	v_mul_f64 v[0:1], v[26:27], v[26:27]
	s_waitcnt vmcnt(0)
	v_fmac_f64_e32 v[0:1], v[28:29], v[28:29]
	v_div_scale_f64 v[2:3], s[46:47], v[0:1], v[0:1], 1.0
	v_rcp_f64_e32 v[4:5], v[2:3]
	v_div_scale_f64 v[6:7], vcc, 1.0, v[0:1], 1.0
	s_mov_b64 s[46:47], 0
	v_fma_f64 v[8:9], -v[2:3], v[4:5], 1.0
	v_fmac_f64_e32 v[4:5], v[4:5], v[8:9]
	v_fma_f64 v[8:9], -v[2:3], v[4:5], 1.0
	v_fmac_f64_e32 v[4:5], v[4:5], v[8:9]
	v_mul_f64 v[8:9], v[6:7], v[4:5]
	v_fma_f64 v[2:3], -v[2:3], v[8:9], v[6:7]
	v_div_fmas_f64 v[2:3], v[2:3], v[4:5], v[8:9]
	v_div_fixup_f64 v[30:31], v[2:3], v[0:1], 1.0
	s_branch .LBB22_100
.LBB22_99:                              ;   in Loop: Header=BB22_100 Depth=2
	s_or_b64 exec, exec, s[48:49]
	v_add_u32_e32 v24, 32, v24
	v_cmp_le_i32_e32 vcc, s33, v24
	s_or_b64 s[46:47], vcc, s[46:47]
	v_add_u32_e32 v39, s35, v39
	s_andn2_b64 exec, exec, s[46:47]
	s_cbranch_execz .LBB22_123
.LBB22_100:                             ;   Parent Loop BB22_84 Depth=1
                                        ; =>  This Loop Header: Depth=2
                                        ;       Child Loop BB22_110 Depth 3
	s_and_b64 vcc, exec, s[16:17]
	v_add_u32_e32 v6, v24, v37
	s_cbranch_vccz .LBB22_121
; %bb.101:                              ;   in Loop: Header=BB22_100 Depth=2
	v_add_u32_e32 v0, v24, v37
	s_cbranch_execnz .LBB22_103
.LBB22_102:                             ;   in Loop: Header=BB22_100 Depth=2
	v_add_u32_e32 v0, v24, v15
	v_mad_u64_u32 v[0:1], s[48:49], v0, s33, v[14:15]
.LBB22_103:                             ;   in Loop: Header=BB22_100 Depth=2
	v_ashrrev_i32_e32 v1, 31, v0
	v_lshlrev_b64 v[0:1], 4, v[0:1]
	v_mov_b32_e32 v2, s25
	v_add_co_u32_e32 v0, vcc, s24, v0
	v_addc_co_u32_e32 v1, vcc, v2, v1, vcc
	global_load_dwordx4 v[2:5], v[0:1], off
	s_and_b64 vcc, exec, s[16:17]
	s_cbranch_vccz .LBB22_122
; %bb.104:                              ;   in Loop: Header=BB22_100 Depth=2
	s_cbranch_execnz .LBB22_106
.LBB22_105:                             ;   in Loop: Header=BB22_100 Depth=2
	v_add_u32_e32 v0, v24, v15
	v_mad_u64_u32 v[6:7], s[48:49], v0, s33, v[14:15]
.LBB22_106:                             ;   in Loop: Header=BB22_100 Depth=2
	s_waitcnt vmcnt(0)
	v_mul_f64 v[0:1], v[26:27], v[4:5]
	v_fmac_f64_e32 v[0:1], v[2:3], v[28:29]
	v_mul_f64 v[2:3], v[26:27], -v[2:3]
	v_ashrrev_i32_e32 v7, 31, v6
	v_fmac_f64_e32 v[2:3], v[4:5], v[28:29]
	v_lshlrev_b64 v[4:5], 4, v[6:7]
	v_mov_b32_e32 v6, s25
	v_add_co_u32_e32 v4, vcc, s24, v4
	v_mul_f64 v[0:1], v[30:31], v[0:1]
	v_mul_f64 v[2:3], v[30:31], v[2:3]
	v_addc_co_u32_e32 v5, vcc, v6, v5, vcc
	global_store_dwordx4 v[4:5], v[0:3], off
	s_and_saveexec_b64 s[48:49], s[8:9]
	s_cbranch_execz .LBB22_99
; %bb.107:                              ;   in Loop: Header=BB22_100 Depth=2
	s_mov_b64 s[50:51], 0
	v_mov_b32_e32 v40, v38
	s_branch .LBB22_110
.LBB22_108:                             ;   in Loop: Header=BB22_110 Depth=3
	v_add_u32_e32 v32, v39, v40
.LBB22_109:                             ;   in Loop: Header=BB22_110 Depth=3
	s_waitcnt vmcnt(0)
	v_fma_f64 v[8:9], -v[0:1], v[4:5], v[8:9]
	v_fma_f64 v[4:5], -v[2:3], v[4:5], v[10:11]
	v_ashrrev_i32_e32 v33, 31, v32
	v_fma_f64 v[10:11], -v[0:1], v[6:7], v[4:5]
	v_lshlrev_b64 v[4:5], 4, v[32:33]
	v_fmac_f64_e32 v[8:9], v[2:3], v[6:7]
	v_mov_b32_e32 v6, s25
	v_add_co_u32_e32 v4, vcc, s24, v4
	v_addc_co_u32_e32 v5, vcc, v6, v5, vcc
	v_add_u32_e32 v40, 1, v40
	v_cmp_le_i32_e32 vcc, s33, v40
	s_or_b64 s[50:51], vcc, s[50:51]
	global_store_dwordx4 v[4:5], v[8:11], off
	s_andn2_b64 exec, exec, s[50:51]
	s_cbranch_execz .LBB22_99
.LBB22_110:                             ;   Parent Loop BB22_84 Depth=1
                                        ;     Parent Loop BB22_100 Depth=2
                                        ; =>    This Inner Loop Header: Depth=3
	s_and_b64 vcc, exec, s[16:17]
	v_add_u32_e32 v32, v40, v15
	s_cbranch_vccz .LBB22_118
; %bb.111:                              ;   in Loop: Header=BB22_110 Depth=3
	v_mad_u64_u32 v[4:5], s[52:53], v32, s33, v[14:15]
	s_cbranch_execnz .LBB22_113
.LBB22_112:                             ;   in Loop: Header=BB22_110 Depth=3
	v_add_u32_e32 v4, v37, v40
.LBB22_113:                             ;   in Loop: Header=BB22_110 Depth=3
	v_ashrrev_i32_e32 v5, 31, v4
	v_lshlrev_b64 v[4:5], 4, v[4:5]
	v_mov_b32_e32 v6, s25
	v_add_co_u32_e32 v4, vcc, s24, v4
	v_addc_co_u32_e32 v5, vcc, v6, v5, vcc
	global_load_dwordx4 v[4:7], v[4:5], off
	s_and_b64 vcc, exec, s[16:17]
	s_cbranch_vccz .LBB22_119
; %bb.114:                              ;   in Loop: Header=BB22_110 Depth=3
	v_mad_u64_u32 v[8:9], s[52:53], v32, s33, v[24:25]
	s_cbranch_execnz .LBB22_116
.LBB22_115:                             ;   in Loop: Header=BB22_110 Depth=3
	v_add_u32_e32 v8, v39, v40
.LBB22_116:                             ;   in Loop: Header=BB22_110 Depth=3
	v_ashrrev_i32_e32 v9, 31, v8
	v_lshlrev_b64 v[8:9], 4, v[8:9]
	v_mov_b32_e32 v10, s25
	v_add_co_u32_e32 v8, vcc, s24, v8
	v_addc_co_u32_e32 v9, vcc, v10, v9, vcc
	global_load_dwordx4 v[8:11], v[8:9], off
	s_and_b64 vcc, exec, s[16:17]
	s_cbranch_vccz .LBB22_120
; %bb.117:                              ;   in Loop: Header=BB22_110 Depth=3
	v_mad_u64_u32 v[32:33], s[52:53], v32, s33, v[24:25]
	s_cbranch_execnz .LBB22_109
	s_branch .LBB22_108
.LBB22_118:                             ;   in Loop: Header=BB22_110 Depth=3
                                        ; implicit-def: $vgpr4
	s_branch .LBB22_112
.LBB22_119:                             ;   in Loop: Header=BB22_110 Depth=3
                                        ; implicit-def: $vgpr8
	s_branch .LBB22_115
.LBB22_120:                             ;   in Loop: Header=BB22_110 Depth=3
                                        ; implicit-def: $vgpr32
	s_branch .LBB22_108
.LBB22_121:                             ;   in Loop: Header=BB22_100 Depth=2
                                        ; implicit-def: $vgpr0
	s_branch .LBB22_102
.LBB22_122:                             ;   in Loop: Header=BB22_100 Depth=2
                                        ; implicit-def: $vgpr6
	s_branch .LBB22_105
.LBB22_123:                             ;   in Loop: Header=BB22_84 Depth=1
	s_or_b64 exec, exec, s[44:45]
	s_and_b64 s[44:45], s[36:37], exec
	s_andn2_b64 s[4:5], s[4:5], exec
.LBB22_124:                             ;   in Loop: Header=BB22_84 Depth=1
	s_or_b64 exec, exec, s[42:43]
	s_andn2_b64 s[8:9], s[36:37], exec
	s_and_b64 s[36:37], s[44:45], exec
	s_or_b64 s[36:37], s[8:9], s[36:37]
	s_and_saveexec_b64 s[8:9], s[4:5]
	s_cbranch_execz .LBB22_83
; %bb.125:                              ;   in Loop: Header=BB22_84 Depth=1
	v_add_u32_e32 v38, 1, v14
	s_or_b64 s[36:37], s[36:37], exec
	s_branch .LBB22_83
.LBB22_126:
	s_or_b64 exec, exec, s[20:21]
	s_andn2_b64 s[4:5], s[10:11], exec
	s_and_b64 s[6:7], s[26:27], exec
	s_or_b64 s[10:11], s[4:5], s[6:7]
.LBB22_127:
	s_or_b64 exec, exec, s[14:15]
	v_add_u32_e32 v14, 1, v22
	v_cmp_lt_i32_e32 vcc, v14, v17
	s_and_saveexec_b64 s[14:15], vcc
	s_cbranch_execz .LBB22_151
; %bb.128:
	v_mul_lo_u32 v15, v22, s33
	v_mul_lo_u32 v0, s33, v15
	s_mul_i32 s27, s33, s33
	v_add_u32_e32 v21, s33, v0
	v_mul_lo_u32 v0, s27, v14
	s_cmp_lg_u32 s40, 0
	v_add3_u32 v22, v0, s33, v20
	v_cndmask_b32_e64 v0, 0, 1, s[12:13]
	v_cmp_gt_i32_e64 s[4:5], s33, v20
	s_cselect_b64 s[16:17], -1, 0
	s_add_i32 s26, s33, 1
	s_mov_b64 s[18:19], 0
	v_cmp_ne_u32_e64 s[6:7], 1, v0
	s_branch .LBB22_130
.LBB22_129:                             ;   in Loop: Header=BB22_130 Depth=1
	v_add_u32_e32 v14, 1, v14
	v_cmp_ge_i32_e32 vcc, v14, v17
	s_or_b64 s[18:19], vcc, s[18:19]
	v_add_u32_e32 v22, s27, v22
	s_andn2_b64 exec, exec, s[18:19]
	s_cbranch_execz .LBB22_151
.LBB22_130:                             ; =>This Loop Header: Depth=1
                                        ;     Child Loop BB22_133 Depth 2
                                        ;       Child Loop BB22_136 Depth 3
                                        ;         Child Loop BB22_140 Depth 4
	s_and_b64 vcc, exec, s[6:7]
	s_cbranch_vccnz .LBB22_129
; %bb.131:                              ;   in Loop: Header=BB22_130 Depth=1
	v_mul_lo_u32 v23, v14, s33
	s_mov_b32 s35, 0
	v_mov_b32_e32 v24, v22
	v_mov_b32_e32 v25, v21
	s_branch .LBB22_133
.LBB22_132:                             ;   in Loop: Header=BB22_133 Depth=2
	s_or_b64 exec, exec, s[12:13]
	v_add_u32_e32 v25, s26, v25
	v_add_u32_e32 v24, s33, v24
	s_cmp_eq_u32 s36, s33
	s_mov_b32 s35, s36
	s_cbranch_scc1 .LBB22_129
.LBB22_133:                             ;   Parent Loop BB22_130 Depth=1
                                        ; =>  This Loop Header: Depth=2
                                        ;       Child Loop BB22_136 Depth 3
                                        ;         Child Loop BB22_140 Depth 4
	s_add_i32 s36, s35, 1
	s_and_saveexec_b64 s[12:13], s[4:5]
	s_cbranch_execz .LBB22_132
; %bb.134:                              ;   in Loop: Header=BB22_133 Depth=2
	s_cmp_lt_i32 s36, s33
	v_add_u32_e32 v0, s35, v15
	v_mul_lo_u32 v26, v0, s33
	v_add_u32_e32 v0, s35, v23
	s_cselect_b64 s[8:9], -1, 0
	v_mul_lo_u32 v27, v0, s33
	v_cndmask_b32_e64 v0, 0, 1, s[8:9]
	s_mov_b64 s[20:21], 0
	v_cmp_ne_u32_e64 s[8:9], 1, v0
	v_mov_b32_e32 v28, v24
	v_mov_b32_e32 v29, v20
	s_branch .LBB22_136
.LBB22_135:                             ;   in Loop: Header=BB22_136 Depth=3
	v_add_u32_e32 v29, 32, v29
	v_cmp_le_i32_e32 vcc, s33, v29
	s_or_b64 s[20:21], vcc, s[20:21]
	v_add_u32_e32 v28, 32, v28
	s_andn2_b64 exec, exec, s[20:21]
	s_cbranch_execz .LBB22_132
.LBB22_136:                             ;   Parent Loop BB22_130 Depth=1
                                        ;     Parent Loop BB22_133 Depth=2
                                        ; =>    This Loop Header: Depth=3
                                        ;         Child Loop BB22_140 Depth 4
	s_and_b64 vcc, exec, s[8:9]
	s_cbranch_vccnz .LBB22_135
; %bb.137:                              ;   in Loop: Header=BB22_136 Depth=3
	v_add_u32_e32 v0, v29, v23
	v_mul_lo_u32 v30, v0, s33
	v_add_u32_e32 v31, s35, v30
	v_add_u32_e32 v32, v29, v27
	s_mov_b32 s37, 0
	s_mov_b32 s40, s36
	s_branch .LBB22_140
.LBB22_138:                             ;   in Loop: Header=BB22_140 Depth=4
	v_mov_b32_e32 v12, v13
.LBB22_139:                             ;   in Loop: Header=BB22_140 Depth=4
	s_waitcnt vmcnt(0)
	v_fma_f64 v[8:9], -v[0:1], v[4:5], v[8:9]
	v_fmac_f64_e32 v[8:9], v[2:3], v[6:7]
	v_fma_f64 v[2:3], -v[2:3], v[4:5], v[10:11]
	v_ashrrev_i32_e32 v13, 31, v12
	v_fma_f64 v[10:11], -v[0:1], v[6:7], v[2:3]
	v_lshlrev_b64 v[0:1], 4, v[12:13]
	v_mov_b32_e32 v2, s25
	v_add_co_u32_e32 v0, vcc, s24, v0
	s_add_i32 s40, s40, 1
	s_add_i32 s37, s37, s33
	v_addc_co_u32_e32 v1, vcc, v2, v1, vcc
	s_cmp_ge_i32 s40, s33
	global_store_dwordx4 v[0:1], v[8:11], off
	s_cbranch_scc1 .LBB22_135
.LBB22_140:                             ;   Parent Loop BB22_130 Depth=1
                                        ;     Parent Loop BB22_133 Depth=2
                                        ;       Parent Loop BB22_136 Depth=3
                                        ; =>      This Inner Loop Header: Depth=4
	s_and_b64 vcc, exec, s[16:17]
	s_cbranch_vccz .LBB22_148
; %bb.141:                              ;   in Loop: Header=BB22_140 Depth=4
	v_add_u32_e32 v0, s40, v26
	v_mov_b32_e32 v2, v31
	s_cbranch_execnz .LBB22_143
.LBB22_142:                             ;   in Loop: Header=BB22_140 Depth=4
	v_add_u32_e32 v0, s37, v25
	v_mov_b32_e32 v2, v32
.LBB22_143:                             ;   in Loop: Header=BB22_140 Depth=4
	v_ashrrev_i32_e32 v1, 31, v0
	v_lshlrev_b64 v[0:1], 4, v[0:1]
	v_mov_b32_e32 v3, s25
	v_add_co_u32_e32 v8, vcc, s24, v0
	v_addc_co_u32_e32 v9, vcc, v3, v1, vcc
	v_ashrrev_i32_e32 v3, 31, v2
	v_lshlrev_b64 v[0:1], 4, v[2:3]
	v_mov_b32_e32 v2, s25
	v_add_co_u32_e32 v10, vcc, s24, v0
	v_addc_co_u32_e32 v11, vcc, v2, v1, vcc
	global_load_dwordx4 v[0:3], v[8:9], off
	global_load_dwordx4 v[4:7], v[10:11], off
	s_and_b64 vcc, exec, s[16:17]
	v_add_u32_e32 v12, s40, v30
	s_cbranch_vccz .LBB22_149
; %bb.144:                              ;   in Loop: Header=BB22_140 Depth=4
	v_add_u32_e32 v8, s40, v30
	v_add_u32_e32 v13, s37, v28
	s_cbranch_execnz .LBB22_146
.LBB22_145:                             ;   in Loop: Header=BB22_140 Depth=4
	v_add_u32_e32 v8, s37, v28
.LBB22_146:                             ;   in Loop: Header=BB22_140 Depth=4
	v_ashrrev_i32_e32 v9, 31, v8
	v_lshlrev_b64 v[8:9], 4, v[8:9]
	v_mov_b32_e32 v10, s25
	v_add_co_u32_e32 v8, vcc, s24, v8
	v_addc_co_u32_e32 v9, vcc, v10, v9, vcc
	global_load_dwordx4 v[8:11], v[8:9], off
	s_and_b64 vcc, exec, s[16:17]
	s_cbranch_vccz .LBB22_150
; %bb.147:                              ;   in Loop: Header=BB22_140 Depth=4
	s_cbranch_execnz .LBB22_139
	s_branch .LBB22_138
.LBB22_148:                             ;   in Loop: Header=BB22_140 Depth=4
                                        ; implicit-def: $vgpr0
	v_mov_b32_e32 v2, v31
	s_branch .LBB22_142
.LBB22_149:                             ;   in Loop: Header=BB22_140 Depth=4
                                        ; implicit-def: $vgpr8
	v_add_u32_e32 v13, s37, v28
	s_branch .LBB22_145
.LBB22_150:                             ;   in Loop: Header=BB22_140 Depth=4
                                        ; implicit-def: $vgpr12
	s_branch .LBB22_138
.LBB22_151:
	s_or_b64 exec, exec, s[14:15]
	s_orn2_b64 s[6:7], s[10:11], exec
.LBB22_152:
	s_or_b64 exec, exec, s[30:31]
	v_cmp_eq_u32_e32 vcc, 0, v20
	s_and_b64 exec, exec, vcc
	s_cbranch_execz .LBB22_158
; %bb.153:
	v_mov_b32_e32 v1, s29
	v_add_co_u32_e32 v0, vcc, s28, v18
	v_addc_co_u32_e32 v1, vcc, v1, v19, vcc
	v_mov_b32_e32 v2, 1
	s_waitcnt vmcnt(0)
	global_store_dword v[0:1], v2, off
	s_and_b64 exec, exec, s[6:7]
	s_cbranch_execz .LBB22_158
; %bb.154:
	s_mov_b64 s[4:5], exec
	v_add_u32_e32 v0, s34, v16
	s_brev_b32 s6, -2
.LBB22_155:                             ; =>This Inner Loop Header: Depth=1
	s_ff1_i32_b64 s7, s[4:5]
	v_readlane_b32 s10, v0, s7
	s_lshl_b64 s[8:9], 1, s7
	s_min_i32 s6, s6, s10
	s_andn2_b64 s[4:5], s[4:5], s[8:9]
	s_cmp_lg_u64 s[4:5], 0
	s_cbranch_scc1 .LBB22_155
; %bb.156:
	v_mbcnt_lo_u32_b32 v0, exec_lo, 0
	v_mbcnt_hi_u32_b32 v0, exec_hi, v0
	v_cmp_eq_u32_e32 vcc, 0, v0
	s_and_saveexec_b64 s[4:5], vcc
	s_xor_b64 s[4:5], exec, s[4:5]
	s_cbranch_execz .LBB22_158
; %bb.157:
	v_mov_b32_e32 v0, 0
	v_mov_b32_e32 v1, s6
	global_atomic_smin v0, v1, s[38:39]
.LBB22_158:
	s_endpgm
	.section	.rodata,"a",@progbits
	.p2align	6, 0x0
	.amdhsa_kernel _ZN9rocsparseL15bsrilu0_generalILj128ELj32ELb0E21rocsparse_complex_numIdEEEv20rocsparse_direction_iPKiS5_PT2_S5_iPiS5_S8_21rocsparse_index_base_imNS_24const_host_device_scalarIfEENSA_IdEENSA_IS6_EEb
		.amdhsa_group_segment_fixed_size 0
		.amdhsa_private_segment_fixed_size 48
		.amdhsa_kernarg_size 124
		.amdhsa_user_sgpr_count 8
		.amdhsa_user_sgpr_private_segment_buffer 1
		.amdhsa_user_sgpr_dispatch_ptr 0
		.amdhsa_user_sgpr_queue_ptr 0
		.amdhsa_user_sgpr_kernarg_segment_ptr 1
		.amdhsa_user_sgpr_dispatch_id 0
		.amdhsa_user_sgpr_flat_scratch_init 1
		.amdhsa_user_sgpr_kernarg_preload_length 0
		.amdhsa_user_sgpr_kernarg_preload_offset 0
		.amdhsa_user_sgpr_private_segment_size 0
		.amdhsa_uses_dynamic_stack 0
		.amdhsa_system_sgpr_private_segment_wavefront_offset 1
		.amdhsa_system_sgpr_workgroup_id_x 1
		.amdhsa_system_sgpr_workgroup_id_y 0
		.amdhsa_system_sgpr_workgroup_id_z 0
		.amdhsa_system_sgpr_workgroup_info 0
		.amdhsa_system_vgpr_workitem_id 0
		.amdhsa_next_free_vgpr 49
		.amdhsa_next_free_sgpr 69
		.amdhsa_accum_offset 52
		.amdhsa_reserve_vcc 1
		.amdhsa_reserve_flat_scratch 1
		.amdhsa_float_round_mode_32 0
		.amdhsa_float_round_mode_16_64 0
		.amdhsa_float_denorm_mode_32 3
		.amdhsa_float_denorm_mode_16_64 3
		.amdhsa_dx10_clamp 1
		.amdhsa_ieee_mode 1
		.amdhsa_fp16_overflow 0
		.amdhsa_tg_split 0
		.amdhsa_exception_fp_ieee_invalid_op 0
		.amdhsa_exception_fp_denorm_src 0
		.amdhsa_exception_fp_ieee_div_zero 0
		.amdhsa_exception_fp_ieee_overflow 0
		.amdhsa_exception_fp_ieee_underflow 0
		.amdhsa_exception_fp_ieee_inexact 0
		.amdhsa_exception_int_div_zero 0
	.end_amdhsa_kernel
	.section	.text._ZN9rocsparseL15bsrilu0_generalILj128ELj32ELb0E21rocsparse_complex_numIdEEEv20rocsparse_direction_iPKiS5_PT2_S5_iPiS5_S8_21rocsparse_index_base_imNS_24const_host_device_scalarIfEENSA_IdEENSA_IS6_EEb,"axG",@progbits,_ZN9rocsparseL15bsrilu0_generalILj128ELj32ELb0E21rocsparse_complex_numIdEEEv20rocsparse_direction_iPKiS5_PT2_S5_iPiS5_S8_21rocsparse_index_base_imNS_24const_host_device_scalarIfEENSA_IdEENSA_IS6_EEb,comdat
.Lfunc_end22:
	.size	_ZN9rocsparseL15bsrilu0_generalILj128ELj32ELb0E21rocsparse_complex_numIdEEEv20rocsparse_direction_iPKiS5_PT2_S5_iPiS5_S8_21rocsparse_index_base_imNS_24const_host_device_scalarIfEENSA_IdEENSA_IS6_EEb, .Lfunc_end22-_ZN9rocsparseL15bsrilu0_generalILj128ELj32ELb0E21rocsparse_complex_numIdEEEv20rocsparse_direction_iPKiS5_PT2_S5_iPiS5_S8_21rocsparse_index_base_imNS_24const_host_device_scalarIfEENSA_IdEENSA_IS6_EEb
                                        ; -- End function
	.section	.AMDGPU.csdata,"",@progbits
; Kernel info:
; codeLenInByte = 4908
; NumSgprs: 75
; NumVgprs: 49
; NumAgprs: 0
; TotalNumVgprs: 49
; ScratchSize: 48
; MemoryBound: 0
; FloatMode: 240
; IeeeMode: 1
; LDSByteSize: 0 bytes/workgroup (compile time only)
; SGPRBlocks: 9
; VGPRBlocks: 6
; NumSGPRsForWavesPerEU: 75
; NumVGPRsForWavesPerEU: 49
; AccumOffset: 52
; Occupancy: 8
; WaveLimiterHint : 1
; COMPUTE_PGM_RSRC2:SCRATCH_EN: 1
; COMPUTE_PGM_RSRC2:USER_SGPR: 8
; COMPUTE_PGM_RSRC2:TRAP_HANDLER: 0
; COMPUTE_PGM_RSRC2:TGID_X_EN: 1
; COMPUTE_PGM_RSRC2:TGID_Y_EN: 0
; COMPUTE_PGM_RSRC2:TGID_Z_EN: 0
; COMPUTE_PGM_RSRC2:TIDIG_COMP_CNT: 0
; COMPUTE_PGM_RSRC3_GFX90A:ACCUM_OFFSET: 12
; COMPUTE_PGM_RSRC3_GFX90A:TG_SPLIT: 0
	.section	.text._ZN9rocsparseL11bsrilu0_2_8ILj64ELj64ELj8E21rocsparse_complex_numIdEEEv20rocsparse_direction_iPKiS5_PT2_S5_iPiS5_S8_21rocsparse_index_base_imNS_24const_host_device_scalarIfEENSA_IdEENSA_IS6_EEb,"axG",@progbits,_ZN9rocsparseL11bsrilu0_2_8ILj64ELj64ELj8E21rocsparse_complex_numIdEEEv20rocsparse_direction_iPKiS5_PT2_S5_iPiS5_S8_21rocsparse_index_base_imNS_24const_host_device_scalarIfEENSA_IdEENSA_IS6_EEb,comdat
	.globl	_ZN9rocsparseL11bsrilu0_2_8ILj64ELj64ELj8E21rocsparse_complex_numIdEEEv20rocsparse_direction_iPKiS5_PT2_S5_iPiS5_S8_21rocsparse_index_base_imNS_24const_host_device_scalarIfEENSA_IdEENSA_IS6_EEb ; -- Begin function _ZN9rocsparseL11bsrilu0_2_8ILj64ELj64ELj8E21rocsparse_complex_numIdEEEv20rocsparse_direction_iPKiS5_PT2_S5_iPiS5_S8_21rocsparse_index_base_imNS_24const_host_device_scalarIfEENSA_IdEENSA_IS6_EEb
	.p2align	8
	.type	_ZN9rocsparseL11bsrilu0_2_8ILj64ELj64ELj8E21rocsparse_complex_numIdEEEv20rocsparse_direction_iPKiS5_PT2_S5_iPiS5_S8_21rocsparse_index_base_imNS_24const_host_device_scalarIfEENSA_IdEENSA_IS6_EEb,@function
_ZN9rocsparseL11bsrilu0_2_8ILj64ELj64ELj8E21rocsparse_complex_numIdEEEv20rocsparse_direction_iPKiS5_PT2_S5_iPiS5_S8_21rocsparse_index_base_imNS_24const_host_device_scalarIfEENSA_IdEENSA_IS6_EEb: ; @_ZN9rocsparseL11bsrilu0_2_8ILj64ELj64ELj8E21rocsparse_complex_numIdEEEv20rocsparse_direction_iPKiS5_PT2_S5_iPiS5_S8_21rocsparse_index_base_imNS_24const_host_device_scalarIfEENSA_IdEENSA_IS6_EEb
; %bb.0:
	s_add_u32 flat_scratch_lo, s6, s9
	s_load_dword s6, s[4:5], 0x78
	s_load_dwordx8 s[36:43], s[4:5], 0x50
	s_load_dwordx2 s[10:11], s[4:5], 0x70
	s_load_dwordx2 s[18:19], s[4:5], 0x48
	s_addc_u32 flat_scratch_hi, s7, 0
	s_add_u32 s0, s0, s9
	s_addc_u32 s1, s1, 0
	s_waitcnt lgkmcnt(0)
	s_bitcmp1_b32 s6, 0
	s_cselect_b64 s[6:7], -1, 0
	s_cmp_lg_u32 s19, 0
	s_cselect_b64 s[12:13], -1, 0
	s_cmp_eq_u32 s19, 0
	s_cselect_b64 s[20:21], -1, 0
	s_and_b64 s[14:15], s[20:21], exec
	v_mov_b32_e32 v1, s42
	s_cselect_b32 s16, 0, s40
	s_cselect_b32 s17, 0, s41
	s_or_b64 s[22:23], s[20:21], s[6:7]
	buffer_store_dword v1, off, s[0:3], 0 offset:32
	v_mov_b32_e32 v1, s43
	s_xor_b64 s[14:15], s[22:23], -1
	s_and_b64 vcc, exec, s[22:23]
	buffer_store_dword v1, off, s[0:3], 0 offset:36
	s_cbranch_vccnz .LBB23_2
; %bb.1:
	s_load_dword s9, s[38:39], 0x0
	s_mov_b64 s[16:17], s[40:41]
	s_waitcnt lgkmcnt(0)
	v_mov_b32_e32 v1, s9
	s_andn2_b64 vcc, exec, s[14:15]
	v_pk_mov_b32 v[6:7], s[16:17], s[16:17] op_sel:[0,1]
	s_cbranch_vccz .LBB23_3
	s_branch .LBB23_4
.LBB23_2:
	v_mov_b32_e32 v1, s38
	v_cndmask_b32_e64 v1, v1, 0, s[20:21]
	s_andn2_b64 vcc, exec, s[14:15]
	v_pk_mov_b32 v[6:7], s[16:17], s[16:17] op_sel:[0,1]
	s_cbranch_vccnz .LBB23_4
.LBB23_3:
	v_pk_mov_b32 v[2:3], s[40:41], s[40:41] op_sel:[0,1]
	flat_load_dwordx2 v[6:7], v[2:3]
.LBB23_4:
	v_cndmask_b32_e64 v2, 0, 1, s[12:13]
	v_cmp_ne_u32_e64 s[16:17], 1, v2
	v_pk_mov_b32 v[2:3], 0, 0
	s_andn2_b64 vcc, exec, s[12:13]
	v_pk_mov_b32 v[4:5], v[2:3], v[2:3] op_sel:[0,1]
	s_cbranch_vccnz .LBB23_7
; %bb.5:
	s_xor_b64 s[14:15], s[6:7], -1
	s_mov_b64 s[12:13], src_private_base
	s_and_b64 s[20:21], s[6:7], exec
	s_cselect_b32 s9, s13, s43
	v_mov_b32_e32 v2, 32
	v_mov_b32_e32 v3, s42
	v_cndmask_b32_e64 v2, v3, v2, s[6:7]
	v_mov_b32_e32 v3, s9
	flat_load_dwordx2 v[2:3], v[2:3]
	s_andn2_b64 vcc, exec, s[14:15]
	v_pk_mov_b32 v[4:5], s[10:11], s[10:11] op_sel:[0,1]
	s_cbranch_vccnz .LBB23_7
; %bb.6:
	v_pk_mov_b32 v[4:5], s[42:43], s[42:43] op_sel:[0,1]
	flat_load_dwordx2 v[4:5], v[4:5] offset:8
.LBB23_7:
	s_load_dwordx4 s[28:31], s[4:5], 0x30
	s_load_dwordx2 s[34:35], s[4:5], 0x40
	s_mov_b32 s9, 0
	s_lshl_b64 s[6:7], s[8:9], 2
	s_waitcnt lgkmcnt(0)
	s_add_u32 s6, s30, s6
	s_addc_u32 s7, s31, s7
	s_load_dword s30, s[6:7], 0x0
	s_load_dwordx8 s[20:27], s[4:5], 0x8
	s_waitcnt lgkmcnt(0)
	s_ashr_i32 s31, s30, 31
	s_lshl_b64 s[38:39], s[30:31], 2
	s_add_u32 s6, s26, s38
	s_addc_u32 s7, s27, s39
	s_load_dword s40, s[6:7], 0x0
	s_waitcnt vmcnt(0)
	buffer_store_dword v3, off, s[0:3], 0 offset:4
	buffer_store_dword v2, off, s[0:3], 0
	buffer_store_dword v5, off, s[0:3], 0 offset:12
	buffer_store_dword v4, off, s[0:3], 0 offset:8
	s_waitcnt lgkmcnt(0)
	s_cmp_eq_u32 s40, -1
	s_cbranch_scc1 .LBB23_86
; %bb.8:
	s_add_u32 s6, s20, s38
	s_addc_u32 s7, s21, s39
	s_load_dwordx2 s[8:9], s[6:7], 0x0
	s_load_dwordx2 s[42:43], s[4:5], 0x0
	s_load_dword s19, s[4:5], 0x28
	s_mov_b64 s[44:45], 0
	s_waitcnt lgkmcnt(0)
	s_sub_i32 s46, s8, s18
	s_sub_i32 s31, s9, s18
	s_cmp_ge_i32 s46, s40
	s_cbranch_scc1 .LBB23_59
; %bb.9:
	s_cmp_eq_u32 s42, 0
	s_cselect_b64 vcc, -1, 0
	s_cmp_gt_i32 s19, 0
	s_cselect_b64 s[10:11], -1, 0
	s_add_u32 s4, s4, 0x80
	s_addc_u32 s5, s5, 0
	s_add_i32 s33, s43, 1
	v_and_b32_e32 v9, 0x3ff, v0
	v_bfe_u32 v11, v0, 10, 10
	s_cmp_lg_u32 s19, 1
	v_lshlrev_b32_e32 v2, 4, v9
	s_movk_i32 s6, 0x90
	v_max_u32_e32 v3, v9, v11
	s_cselect_b64 s[12:13], -1, 0
	s_and_b32 s41, s19, 0x7ffffffe
	v_mad_u32_u24 v18, v11, s6, v2
	v_cmp_gt_u32_e64 s[6:7], s19, v3
	s_bitcmp1_b32 s19, 0
	v_mul_u32_u24_e32 v3, 9, v11
	s_cselect_b64 s[48:49], -1, 0
	s_add_u32 s43, s20, 4
	v_lshlrev_b32_e32 v22, 4, v3
	s_addc_u32 s58, s21, 0
	v_add_u32_e32 v3, v22, v2
	v_add_u32_e32 v25, 0x480, v2
	v_cndmask_b32_e64 v2, 0, 1, s[10:11]
	s_add_u32 s59, s22, 0x100
	v_add_u32_e32 v23, 0x5a0, v3
	v_add_u32_e32 v24, 0x510, v3
	v_cndmask_b32_e64 v3, 0, 1, s[12:13]
	v_cmp_ne_u32_e64 s[10:11], 1, v2
	v_mbcnt_lo_u32_b32 v2, -1, 0
	v_add_u32_e32 v19, 0x480, v18
	v_mul_u32_u24_e32 v20, 0x90, v11
	v_cmp_eq_u32_e64 s[8:9], 0, v11
	v_add_u32_e32 v21, s46, v9
	v_cndmask_b32_e32 v8, v11, v9, vcc
	v_cndmask_b32_e32 v10, v9, v11, vcc
	s_addc_u32 s60, s23, 0
	v_add_u32_e32 v26, 0x130, v22
	v_add_u32_e32 v27, 0x90, v22
	v_mov_b32_e32 v28, 0
	v_cmp_ne_u32_e64 s[12:13], 1, v3
	v_mbcnt_hi_u32_b32 v29, -1, v2
	s_branch .LBB23_12
.LBB23_10:                              ;   in Loop: Header=BB23_12 Depth=1
	s_mov_b64 s[44:45], -1
.LBB23_11:                              ;   in Loop: Header=BB23_12 Depth=1
	s_add_i32 s46, s46, 1
	s_cmp_lt_i32 s46, s40
	s_cselect_b64 s[14:15], -1, 0
	s_and_b64 s[14:15], s[20:21], s[14:15]
	s_and_b64 vcc, exec, s[14:15]
	s_cbranch_vccz .LBB23_59
.LBB23_12:                              ; =>This Loop Header: Depth=1
                                        ;     Child Loop BB23_16 Depth 2
                                        ;     Child Loop BB23_23 Depth 2
	;; [unrolled: 1-line block ×3, first 2 shown]
                                        ;       Child Loop BB23_48 Depth 3
                                        ;       Child Loop BB23_56 Depth 3
	s_ashr_i32 s47, s46, 31
	s_lshl_b64 s[14:15], s[46:47], 2
	s_add_u32 s14, s22, s14
	s_addc_u32 s15, s23, s15
	global_load_dword v4, v28, s[14:15]
	v_pk_mov_b32 v[2:3], 0, 0
	s_waitcnt vmcnt(0)
	v_readfirstlane_b32 s20, v4
	v_pk_mov_b32 v[4:5], v[2:3], v[2:3] op_sel:[0,1]
	s_and_saveexec_b64 s[14:15], s[6:7]
	s_cbranch_execz .LBB23_14
; %bb.13:                               ;   in Loop: Header=BB23_12 Depth=1
	s_mul_i32 s21, s46, s19
	v_add_u32_e32 v2, s21, v8
	v_mad_u64_u32 v[2:3], s[50:51], v2, s19, v[10:11]
	v_mov_b32_e32 v3, v28
	v_lshlrev_b64 v[2:3], 4, v[2:3]
	v_mov_b32_e32 v4, s25
	v_add_co_u32_e32 v2, vcc, s24, v2
	v_addc_co_u32_e32 v3, vcc, v4, v3, vcc
	global_load_dwordx4 v[2:5], v[2:3], off
.LBB23_14:                              ;   in Loop: Header=BB23_12 Depth=1
	s_or_b64 exec, exec, s[14:15]
	s_sub_i32 s14, s20, s18
	s_ashr_i32 s15, s14, 31
	s_lshl_b64 s[14:15], s[14:15], 2
	s_add_u32 s20, s26, s14
	s_addc_u32 s21, s27, s15
	global_load_dword v12, v28, s[20:21]
	s_waitcnt vmcnt(1)
	ds_write_b128 v19, v[2:5]
	s_waitcnt vmcnt(0)
	v_readfirstlane_b32 s47, v12
	v_cmp_eq_u32_e32 vcc, -1, v12
	s_cmp_lg_u32 s47, -1
	s_cselect_b64 s[20:21], -1, 0
	s_cbranch_vccnz .LBB23_10
; %bb.15:                               ;   in Loop: Header=BB23_12 Depth=1
	s_add_u32 s50, s43, s14
	s_addc_u32 s51, s58, s15
	global_load_dword v2, v28, s[50:51]
	s_add_u32 s14, s28, s14
	s_addc_u32 s15, s29, s15
	s_waitcnt vmcnt(0)
	v_readfirstlane_b32 s50, v2
.LBB23_16:                              ;   Parent Loop BB23_12 Depth=1
                                        ; =>  This Inner Loop Header: Depth=2
	global_load_dword v2, v28, s[14:15] glc
	s_waitcnt vmcnt(0)
	v_cmp_eq_u32_e32 vcc, 0, v2
	s_cbranch_vccnz .LBB23_16
; %bb.17:                               ;   in Loop: Header=BB23_12 Depth=1
	v_pk_mov_b32 v[2:3], 0, 0
	v_pk_mov_b32 v[4:5], v[2:3], v[2:3] op_sel:[0,1]
	s_waitcnt lgkmcnt(0)
	buffer_wbinvl1_vol
	s_and_saveexec_b64 s[14:15], s[6:7]
	s_cbranch_execz .LBB23_19
; %bb.18:                               ;   in Loop: Header=BB23_12 Depth=1
	s_mul_i32 s51, s47, s19
	v_add_u32_e32 v2, s51, v8
	v_mad_u64_u32 v[2:3], s[52:53], v2, s19, v[10:11]
	v_mov_b32_e32 v3, v28
	v_lshlrev_b64 v[2:3], 4, v[2:3]
	v_mov_b32_e32 v4, s25
	v_add_co_u32_e32 v2, vcc, s24, v2
	v_addc_co_u32_e32 v3, vcc, v4, v3, vcc
	global_load_dwordx4 v[2:5], v[2:3], off
.LBB23_19:                              ;   in Loop: Header=BB23_12 Depth=1
	s_or_b64 exec, exec, s[14:15]
	s_and_b64 vcc, exec, s[10:11]
	s_waitcnt vmcnt(0)
	ds_write_b128 v18, v[2:5]
	s_waitcnt lgkmcnt(0)
	s_cbranch_vccnz .LBB23_37
; %bb.20:                               ;   in Loop: Header=BB23_12 Depth=1
	s_and_b64 vcc, exec, s[12:13]
	s_mov_b32 s53, 0
	s_cbranch_vccnz .LBB23_31
; %bb.21:                               ;   in Loop: Header=BB23_12 Depth=1
	s_mov_b32 s51, 0
	v_mov_b32_e32 v12, v27
	v_mov_b32_e32 v13, v26
	;; [unrolled: 1-line block ×5, first 2 shown]
	s_mov_b32 s52, 0
	s_branch .LBB23_23
.LBB23_22:                              ;   in Loop: Header=BB23_23 Depth=2
	s_or_b64 exec, exec, s[14:15]
	s_add_i32 s52, s52, 2
	s_addk_i32 s51, 0x140
	v_add_u32_e32 v16, 0x120, v16
	v_add_u32_e32 v15, 0x120, v15
	;; [unrolled: 1-line block ×5, first 2 shown]
	s_cmp_eq_u32 s41, s52
	s_mov_b32 s53, s41
	s_waitcnt lgkmcnt(0)
	s_cbranch_scc1 .LBB23_31
.LBB23_23:                              ;   Parent Loop BB23_12 Depth=1
                                        ; =>  This Inner Loop Header: Depth=2
	v_mov_b32_e32 v2, s51
	ds_read_b128 v[30:33], v2
	ds_read_b128 v[34:37], v14
	s_waitcnt lgkmcnt(0)
	v_mul_f64 v[2:3], v[32:33], v[32:33]
	v_fmac_f64_e32 v[2:3], v[30:31], v[30:31]
	v_div_scale_f64 v[38:39], s[14:15], v[2:3], v[2:3], 1.0
	v_rcp_f64_e32 v[40:41], v[38:39]
	v_div_scale_f64 v[42:43], vcc, 1.0, v[2:3], 1.0
	v_mul_f64 v[4:5], v[32:33], v[36:37]
	v_fma_f64 v[44:45], -v[38:39], v[40:41], 1.0
	v_fmac_f64_e32 v[40:41], v[40:41], v[44:45]
	v_fma_f64 v[44:45], -v[38:39], v[40:41], 1.0
	v_fmac_f64_e32 v[40:41], v[40:41], v[44:45]
	v_mul_f64 v[44:45], v[42:43], v[40:41]
	v_fma_f64 v[38:39], -v[38:39], v[44:45], v[42:43]
	v_div_fmas_f64 v[38:39], v[38:39], v[40:41], v[44:45]
	v_fmac_f64_e32 v[4:5], v[34:35], v[30:31]
	v_div_fixup_f64 v[38:39], v[38:39], v[2:3], 1.0
	v_mul_f64 v[2:3], v[38:39], v[4:5]
	v_mul_f64 v[4:5], v[32:33], -v[34:35]
	v_fmac_f64_e32 v[4:5], v[36:37], v[30:31]
	v_mul_f64 v[4:5], v[38:39], v[4:5]
	s_and_saveexec_b64 s[14:15], s[8:9]
	s_cbranch_execz .LBB23_25
; %bb.24:                               ;   in Loop: Header=BB23_23 Depth=2
	ds_write_b128 v14, v[2:5]
.LBB23_25:                              ;   in Loop: Header=BB23_23 Depth=2
	s_or_b64 exec, exec, s[14:15]
	v_add_u32_e32 v17, s52, v11
	v_add_u32_e32 v30, 1, v17
	v_cmp_gt_i32_e32 vcc, s19, v30
	s_and_saveexec_b64 s[14:15], vcc
	s_cbranch_execz .LBB23_27
; %bb.26:                               ;   in Loop: Header=BB23_23 Depth=2
	ds_read_b128 v[30:33], v12
	ds_read_b128 v[34:37], v15
	s_waitcnt lgkmcnt(0)
	v_fma_f64 v[34:35], -v[2:3], v[30:31], v[34:35]
	v_fma_f64 v[30:31], -v[4:5], v[30:31], v[36:37]
	v_fmac_f64_e32 v[34:35], v[4:5], v[32:33]
	v_fma_f64 v[36:37], -v[2:3], v[32:33], v[30:31]
	ds_write_b128 v15, v[34:37]
.LBB23_27:                              ;   in Loop: Header=BB23_23 Depth=2
	s_or_b64 exec, exec, s[14:15]
	v_mov_b32_e32 v2, s51
	s_waitcnt lgkmcnt(0)
	ds_read_b128 v[30:33], v2 offset:160
	ds_read_b128 v[34:37], v14 offset:144
	s_waitcnt lgkmcnt(0)
	v_mul_f64 v[2:3], v[32:33], v[32:33]
	v_fmac_f64_e32 v[2:3], v[30:31], v[30:31]
	v_div_scale_f64 v[4:5], s[14:15], v[2:3], v[2:3], 1.0
	v_rcp_f64_e32 v[38:39], v[4:5]
	v_div_scale_f64 v[42:43], vcc, 1.0, v[2:3], 1.0
	v_mul_f64 v[40:41], v[32:33], v[36:37]
	v_fma_f64 v[44:45], -v[4:5], v[38:39], 1.0
	v_fmac_f64_e32 v[38:39], v[38:39], v[44:45]
	v_fma_f64 v[44:45], -v[4:5], v[38:39], 1.0
	v_fmac_f64_e32 v[38:39], v[38:39], v[44:45]
	v_mul_f64 v[44:45], v[42:43], v[38:39]
	v_fma_f64 v[4:5], -v[4:5], v[44:45], v[42:43]
	v_div_fmas_f64 v[4:5], v[4:5], v[38:39], v[44:45]
	v_mul_f64 v[32:33], v[32:33], -v[34:35]
	v_div_fixup_f64 v[4:5], v[4:5], v[2:3], 1.0
	v_fmac_f64_e32 v[40:41], v[34:35], v[30:31]
	v_fmac_f64_e32 v[32:33], v[36:37], v[30:31]
	v_mul_f64 v[2:3], v[4:5], v[40:41]
	v_mul_f64 v[4:5], v[4:5], v[32:33]
	s_and_saveexec_b64 s[14:15], s[8:9]
	s_cbranch_execz .LBB23_29
; %bb.28:                               ;   in Loop: Header=BB23_23 Depth=2
	ds_write_b128 v14, v[2:5] offset:144
.LBB23_29:                              ;   in Loop: Header=BB23_23 Depth=2
	s_or_b64 exec, exec, s[14:15]
	v_add_u32_e32 v17, 2, v17
	v_cmp_gt_i32_e32 vcc, s19, v17
	s_and_saveexec_b64 s[14:15], vcc
	s_cbranch_execz .LBB23_22
; %bb.30:                               ;   in Loop: Header=BB23_23 Depth=2
	ds_read_b128 v[30:33], v13
	ds_read_b128 v[34:37], v16
	s_waitcnt lgkmcnt(0)
	v_fma_f64 v[34:35], -v[2:3], v[30:31], v[34:35]
	v_fma_f64 v[30:31], -v[4:5], v[30:31], v[36:37]
	v_fmac_f64_e32 v[34:35], v[4:5], v[32:33]
	v_fma_f64 v[36:37], -v[2:3], v[32:33], v[30:31]
	ds_write_b128 v16, v[34:37]
	s_branch .LBB23_22
.LBB23_31:                              ;   in Loop: Header=BB23_12 Depth=1
	s_andn2_b64 vcc, exec, s[48:49]
	s_cbranch_vccnz .LBB23_37
; %bb.32:                               ;   in Loop: Header=BB23_12 Depth=1
	s_lshl_b32 s14, s53, 4
	s_mul_i32 s15, s53, 0x90
	s_add_i32 s51, s15, s14
	v_mov_b32_e32 v2, s51
	ds_read_b128 v[14:17], v2
	v_lshl_add_u32 v12, v9, 4, s15
	ds_read_b128 v[30:33], v12 offset:1152
	v_add_u32_e32 v12, 0x480, v12
	s_waitcnt lgkmcnt(0)
	v_mul_f64 v[2:3], v[16:17], v[16:17]
	v_fmac_f64_e32 v[2:3], v[14:15], v[14:15]
	v_div_scale_f64 v[4:5], s[14:15], v[2:3], v[2:3], 1.0
	v_rcp_f64_e32 v[34:35], v[4:5]
	v_div_scale_f64 v[36:37], vcc, 1.0, v[2:3], 1.0
	v_fma_f64 v[38:39], -v[4:5], v[34:35], 1.0
	v_fmac_f64_e32 v[34:35], v[34:35], v[38:39]
	v_fma_f64 v[38:39], -v[4:5], v[34:35], 1.0
	v_fmac_f64_e32 v[34:35], v[34:35], v[38:39]
	v_mul_f64 v[38:39], v[36:37], v[34:35]
	v_fma_f64 v[4:5], -v[4:5], v[38:39], v[36:37]
	v_div_fmas_f64 v[4:5], v[4:5], v[34:35], v[38:39]
	v_div_fixup_f64 v[4:5], v[4:5], v[2:3], 1.0
	v_mul_f64 v[2:3], v[16:17], v[32:33]
	v_mul_f64 v[16:17], v[16:17], -v[30:31]
	v_fmac_f64_e32 v[2:3], v[30:31], v[14:15]
	v_fmac_f64_e32 v[16:17], v[32:33], v[14:15]
	v_mul_f64 v[2:3], v[4:5], v[2:3]
	v_mul_f64 v[4:5], v[4:5], v[16:17]
	s_and_saveexec_b64 s[14:15], s[8:9]
	s_cbranch_execz .LBB23_34
; %bb.33:                               ;   in Loop: Header=BB23_12 Depth=1
	ds_write_b128 v12, v[2:5]
.LBB23_34:                              ;   in Loop: Header=BB23_12 Depth=1
	s_or_b64 exec, exec, s[14:15]
	v_add3_u32 v13, s53, 1, v11
	v_cmp_gt_i32_e32 vcc, s19, v13
	s_and_saveexec_b64 s[14:15], vcc
	s_cbranch_execz .LBB23_36
; %bb.35:                               ;   in Loop: Header=BB23_12 Depth=1
	v_add_u32_e32 v13, s51, v22
	v_add_u32_e32 v16, v12, v22
	ds_read_b128 v[12:15], v13 offset:144
	ds_read_b128 v[30:33], v16 offset:144
	s_waitcnt lgkmcnt(0)
	v_fma_f64 v[30:31], -v[2:3], v[12:13], v[30:31]
	v_fma_f64 v[12:13], -v[4:5], v[12:13], v[32:33]
	v_fmac_f64_e32 v[30:31], v[4:5], v[14:15]
	v_fma_f64 v[32:33], -v[2:3], v[14:15], v[12:13]
	ds_write_b128 v16, v[30:33] offset:144
.LBB23_36:                              ;   in Loop: Header=BB23_12 Depth=1
	s_or_b64 exec, exec, s[14:15]
	s_waitcnt lgkmcnt(0)
.LBB23_37:                              ;   in Loop: Header=BB23_12 Depth=1
	s_and_saveexec_b64 s[14:15], s[6:7]
	s_cbranch_execz .LBB23_39
; %bb.38:                               ;   in Loop: Header=BB23_12 Depth=1
	s_mul_i32 s51, s46, s19
	v_add_u32_e32 v2, s51, v8
	v_mad_u64_u32 v[2:3], s[52:53], v2, s19, v[10:11]
	v_mov_b32_e32 v3, v28
	v_lshlrev_b64 v[12:13], 4, v[2:3]
	ds_read2_b64 v[2:5], v19 offset1:1
	v_mov_b32_e32 v14, s25
	v_add_co_u32_e32 v12, vcc, s24, v12
	v_addc_co_u32_e32 v13, vcc, v14, v13, vcc
	s_waitcnt lgkmcnt(0)
	global_store_dwordx4 v[12:13], v[2:5], off
.LBB23_39:                              ;   in Loop: Header=BB23_12 Depth=1
	s_or_b64 exec, exec, s[14:15]
	s_sub_i32 s61, s50, s18
	s_add_i32 s50, s47, 1
	s_cmp_ge_i32 s50, s61
	s_cbranch_scc1 .LBB23_11
; %bb.40:                               ;   in Loop: Header=BB23_12 Depth=1
	s_load_dword s14, s[4:5], 0xc
	v_mov_b32_e32 v4, s23
	s_waitcnt lgkmcnt(0)
	s_and_b32 s14, s14, 0xffff
	v_mad_u32_u24 v12, v11, s14, v21
	v_ashrrev_i32_e32 v13, 31, v12
	v_lshlrev_b64 v[2:3], 2, v[12:13]
	v_add_co_u32_e32 v14, vcc, s22, v2
	v_cmp_gt_i32_e64 s[14:15], s31, v12
	v_addc_co_u32_e32 v15, vcc, v4, v3, vcc
	s_branch .LBB23_43
.LBB23_41:                              ;   in Loop: Header=BB23_43 Depth=2
	s_or_b64 exec, exec, s[52:53]
.LBB23_42:                              ;   in Loop: Header=BB23_43 Depth=2
	s_add_i32 s50, s50, 1
	s_cmp_lt_i32 s50, s61
	s_cbranch_scc0 .LBB23_11
.LBB23_43:                              ;   Parent Loop BB23_12 Depth=1
                                        ; =>  This Loop Header: Depth=2
                                        ;       Child Loop BB23_48 Depth 3
                                        ;       Child Loop BB23_56 Depth 3
	s_ashr_i32 s51, s50, 31
	s_lshl_b64 s[52:53], s[50:51], 2
	s_add_u32 s52, s22, s52
	s_addc_u32 s53, s23, s53
	global_load_dword v2, v28, s[52:53]
	v_mov_b32_e32 v3, s33
	s_and_saveexec_b64 s[52:53], s[14:15]
	s_cbranch_execz .LBB23_45
; %bb.44:                               ;   in Loop: Header=BB23_43 Depth=2
	global_load_dword v3, v[14:15], off
	s_waitcnt vmcnt(0)
	v_subrev_u32_e32 v3, s18, v3
.LBB23_45:                              ;   in Loop: Header=BB23_43 Depth=2
	s_or_b64 exec, exec, s[52:53]
	s_waitcnt vmcnt(0)
	v_subrev_u32_e32 v4, s18, v2
	v_cmp_lt_i32_e32 vcc, v3, v4
	v_mov_b32_e32 v5, v12
	s_and_saveexec_b64 s[52:53], vcc
	s_cbranch_execz .LBB23_51
; %bb.46:                               ;   in Loop: Header=BB23_43 Depth=2
	s_mov_b64 s[54:55], 0
	v_mov_b32_e32 v2, v12
	s_branch .LBB23_48
.LBB23_47:                              ;   in Loop: Header=BB23_48 Depth=3
	s_or_b64 exec, exec, s[56:57]
	v_cmp_ge_i32_e32 vcc, v3, v4
	s_or_b64 s[54:55], vcc, s[54:55]
	v_mov_b32_e32 v2, v5
	s_andn2_b64 exec, exec, s[54:55]
	s_cbranch_execz .LBB23_50
.LBB23_48:                              ;   Parent Loop BB23_12 Depth=1
                                        ;     Parent Loop BB23_43 Depth=2
                                        ; =>    This Inner Loop Header: Depth=3
	v_add_u32_e32 v5, 64, v2
	v_cmp_gt_i32_e32 vcc, s31, v5
	v_mov_b32_e32 v3, s33
	s_and_saveexec_b64 s[56:57], vcc
	s_cbranch_execz .LBB23_47
; %bb.49:                               ;   in Loop: Header=BB23_48 Depth=3
	v_ashrrev_i32_e32 v3, 31, v2
	v_lshlrev_b64 v[2:3], 2, v[2:3]
	v_mov_b32_e32 v13, s60
	v_add_co_u32_e32 v2, vcc, s59, v2
	v_addc_co_u32_e32 v3, vcc, v13, v3, vcc
	global_load_dword v2, v[2:3], off
	s_waitcnt vmcnt(0)
	v_subrev_u32_e32 v3, s18, v2
	s_branch .LBB23_47
.LBB23_50:                              ;   in Loop: Header=BB23_43 Depth=2
	s_or_b64 exec, exec, s[54:55]
.LBB23_51:                              ;   in Loop: Header=BB23_43 Depth=2
	s_or_b64 exec, exec, s[52:53]
	v_cmp_eq_u32_e32 vcc, v3, v4
	s_cbranch_vccz .LBB23_42
; %bb.52:                               ;   in Loop: Header=BB23_43 Depth=2
	s_ff1_i32_b64 s47, vcc
	v_and_or_b32 v2, v29, 64, s47
	v_lshlrev_b32_e32 v2, 2, v2
	ds_bpermute_b32 v13, v2, v5
	v_pk_mov_b32 v[16:17], 0, 0
	v_pk_mov_b32 v[4:5], v[16:17], v[16:17] op_sel:[0,1]
	v_pk_mov_b32 v[2:3], v[16:17], v[16:17] op_sel:[0,1]
	s_and_saveexec_b64 s[52:53], s[6:7]
	s_cbranch_execz .LBB23_54
; %bb.53:                               ;   in Loop: Header=BB23_43 Depth=2
	s_mul_i32 s47, s50, s19
	v_add_u32_e32 v2, s47, v8
	v_mad_u64_u32 v[2:3], s[54:55], v2, s19, v[10:11]
	v_mov_b32_e32 v3, v28
	v_lshlrev_b64 v[2:3], 4, v[2:3]
	v_mov_b32_e32 v4, s25
	v_add_co_u32_e32 v2, vcc, s24, v2
	v_addc_co_u32_e32 v3, vcc, v4, v3, vcc
	global_load_dwordx4 v[2:5], v[2:3], off
.LBB23_54:                              ;   in Loop: Header=BB23_43 Depth=2
	s_or_b64 exec, exec, s[52:53]
	s_waitcnt vmcnt(0)
	ds_write_b128 v18, v[2:5]
	s_and_b64 vcc, exec, s[10:11]
	v_pk_mov_b32 v[2:3], v[16:17], v[16:17] op_sel:[0,1]
	s_waitcnt lgkmcnt(0)
	s_cbranch_vccnz .LBB23_57
; %bb.55:                               ;   in Loop: Header=BB23_43 Depth=2
	v_pk_mov_b32 v[16:17], 0, 0
	v_mov_b32_e32 v4, v25
	v_mov_b32_e32 v5, v20
	s_mov_b32 s47, s19
	v_pk_mov_b32 v[2:3], v[16:17], v[16:17] op_sel:[0,1]
.LBB23_56:                              ;   Parent Loop BB23_12 Depth=1
                                        ;     Parent Loop BB23_43 Depth=2
                                        ; =>    This Inner Loop Header: Depth=3
	ds_read_b128 v[30:33], v4
	ds_read_b128 v[34:37], v5
	s_add_i32 s47, s47, -1
	v_add_u32_e32 v5, 16, v5
	v_add_u32_e32 v4, 0x90, v4
	s_cmp_eq_u32 s47, 0
	s_waitcnt lgkmcnt(0)
	v_fmac_f64_e32 v[16:17], v[30:31], v[34:35]
	v_fmac_f64_e32 v[2:3], v[32:33], v[34:35]
	v_fma_f64 v[16:17], -v[32:33], v[36:37], v[16:17]
	v_fmac_f64_e32 v[2:3], v[30:31], v[36:37]
	s_cbranch_scc0 .LBB23_56
.LBB23_57:                              ;   in Loop: Header=BB23_43 Depth=2
	s_and_saveexec_b64 s[52:53], s[6:7]
	s_cbranch_execz .LBB23_41
; %bb.58:                               ;   in Loop: Header=BB23_43 Depth=2
	v_mad_u64_u32 v[4:5], s[54:55], v13, s19, v[8:9]
	v_mad_u64_u32 v[4:5], s[54:55], v4, s19, v[10:11]
	v_mov_b32_e32 v5, v28
	v_lshlrev_b64 v[4:5], 4, v[4:5]
	v_mov_b32_e32 v13, s25
	v_add_co_u32_e32 v4, vcc, s24, v4
	v_addc_co_u32_e32 v5, vcc, v13, v5, vcc
	global_load_dwordx4 v[30:33], v[4:5], off
	s_waitcnt vmcnt(0)
	v_add_f64 v[30:31], v[30:31], -v[16:17]
	v_add_f64 v[32:33], v[32:33], -v[2:3]
	global_store_dwordx4 v[4:5], v[30:33], off
	s_branch .LBB23_41
.LBB23_59:
	s_ashr_i32 s41, s40, 31
	s_lshl_b64 s[4:5], s[40:41], 2
	s_add_u32 s4, s22, s4
	s_addc_u32 s5, s23, s5
	v_mov_b32_e32 v2, 0
	global_load_dword v2, v2, s[4:5]
	s_waitcnt vmcnt(0)
	v_subrev_u32_e32 v2, s18, v2
	v_cmp_ne_u32_e32 vcc, s30, v2
	s_cbranch_vccnz .LBB23_87
; %bb.60:
	v_and_b32_e32 v14, 0x3ff, v0
	v_bfe_u32 v15, v0, 10, 10
	v_max_u32_e32 v2, v14, v15
	v_pk_mov_b32 v[4:5], 0, 0
	v_cmp_gt_u32_e64 s[6:7], s19, v2
	v_pk_mov_b32 v[2:3], v[4:5], v[4:5] op_sel:[0,1]
	s_and_saveexec_b64 s[4:5], s[6:7]
	s_cbranch_execz .LBB23_62
; %bb.61:
	s_cmp_eq_u32 s42, 0
	s_cselect_b64 vcc, -1, 0
	s_mul_i32 s8, s40, s19
	v_cndmask_b32_e32 v3, v15, v14, vcc
	v_cndmask_b32_e32 v2, v14, v15, vcc
	v_add_u32_e32 v3, s8, v3
	v_mad_u64_u32 v[2:3], s[8:9], v3, s19, v[2:3]
	v_mov_b32_e32 v3, 0
	v_lshlrev_b64 v[2:3], 4, v[2:3]
	v_mov_b32_e32 v4, s25
	v_add_co_u32_e32 v2, vcc, s24, v2
	v_addc_co_u32_e32 v3, vcc, v4, v3, vcc
	global_load_dwordx4 v[2:5], v[2:3], off
.LBB23_62:
	s_or_b64 exec, exec, s[4:5]
	v_lshlrev_b32_e32 v8, 4, v14
	s_movk_i32 s33, 0x90
	v_mad_u32_u24 v16, v15, s33, v8
	s_cmp_lt_i32 s19, 1
	s_waitcnt vmcnt(0)
	ds_write_b128 v16, v[2:5]
	s_waitcnt lgkmcnt(0)
	s_cbranch_scc1 .LBB23_119
; %bb.63:
	s_cmp_eq_u64 s[36:37], 8
	v_cvt_f64_f32_e32 v[2:3], v1
	s_cselect_b64 vcc, -1, 0
	v_cndmask_b32_e32 v6, v2, v6, vcc
	v_or_b32_e32 v1, v14, v15
	v_mul_u32_u24_e32 v2, 9, v15
	s_mov_b32 s20, 0
	v_cndmask_b32_e32 v7, v3, v7, vcc
	v_cmp_eq_u32_e64 s[8:9], 0, v1
	v_cmp_eq_u32_e64 s[10:11], 0, v15
	s_mov_b64 s[14:15], 0
	v_mov_b32_e32 v18, 0
	s_brev_b32 s21, 8
	v_mov_b32_e32 v1, 0x260
	v_mov_b32_e32 v17, 0
	;; [unrolled: 1-line block ×3, first 2 shown]
	v_lshlrev_b32_e32 v20, 4, v2
	v_mov_b32_e32 v21, 0xffffff80
                                        ; implicit-def: $sgpr12_sgpr13
	s_branch .LBB23_65
.LBB23_64:                              ;   in Loop: Header=BB23_65 Depth=1
	s_or_b64 exec, exec, s[22:23]
	v_cmp_eq_u32_e32 vcc, s19, v18
	s_or_b64 s[14:15], vcc, s[14:15]
	s_andn2_b64 s[4:5], s[12:13], exec
	s_and_b64 s[12:13], s[44:45], exec
	s_or_b64 s[12:13], s[4:5], s[12:13]
	s_andn2_b64 exec, exec, s[14:15]
	s_cbranch_execz .LBB23_88
.LBB23_65:                              ; =>This Inner Loop Header: Depth=1
	v_mul_lo_u32 v2, v18, s33
	v_lshl_add_u32 v22, v18, 4, v2
	ds_read2_b64 v[2:5], v22 offset1:1
	s_mov_b64 s[26:27], -1
	s_and_b64 vcc, exec, s[16:17]
	s_mov_b64 s[22:23], 0
	s_waitcnt lgkmcnt(0)
	buffer_store_dword v5, off, s[0:3], 0 offset:28
	buffer_store_dword v4, off, s[0:3], 0 offset:24
	;; [unrolled: 1-line block ×4, first 2 shown]
	s_cbranch_vccz .LBB23_69
; %bb.66:                               ;   in Loop: Header=BB23_65 Depth=1
	s_mov_b64 s[4:5], 0
	s_and_b64 vcc, exec, s[26:27]
	s_cbranch_vccnz .LBB23_78
.LBB23_67:                              ;   in Loop: Header=BB23_65 Depth=1
	v_add_u32_e32 v8, 1, v18
	s_and_saveexec_b64 s[26:27], s[22:23]
	s_xor_b64 s[22:23], exec, s[26:27]
	s_cbranch_execnz .LBB23_79
.LBB23_68:                              ;   in Loop: Header=BB23_65 Depth=1
	s_or_b64 exec, exec, s[22:23]
	s_and_saveexec_b64 s[22:23], s[4:5]
	s_cbranch_execz .LBB23_64
	s_branch .LBB23_85
.LBB23_69:                              ;   in Loop: Header=BB23_65 Depth=1
	v_xor_b32_e32 v8, 0x80000000, v3
	v_cmp_gt_f64_e32 vcc, 0, v[2:3]
	v_cndmask_b32_e32 v9, v3, v8, vcc
	v_cndmask_b32_e32 v8, v2, v2, vcc
	v_xor_b32_e32 v10, 0x80000000, v5
	v_cmp_gt_f64_e32 vcc, 0, v[4:5]
	v_cndmask_b32_e32 v11, v5, v10, vcc
	v_cndmask_b32_e32 v10, v4, v4, vcc
	v_cmp_ngt_f64_e32 vcc, v[8:9], v[10:11]
                                        ; implicit-def: $vgpr12_vgpr13
	s_and_saveexec_b64 s[4:5], vcc
	s_xor_b64 s[4:5], exec, s[4:5]
	s_cbranch_execz .LBB23_73
; %bb.70:                               ;   in Loop: Header=BB23_65 Depth=1
	v_cmp_neq_f64_e32 vcc, 0, v[4:5]
	v_pk_mov_b32 v[12:13], 0, 0
	s_and_saveexec_b64 s[22:23], vcc
	s_cbranch_execz .LBB23_72
; %bb.71:                               ;   in Loop: Header=BB23_65 Depth=1
	v_div_scale_f64 v[12:13], s[26:27], v[10:11], v[10:11], v[8:9]
	v_rcp_f64_e32 v[24:25], v[12:13]
	v_div_scale_f64 v[26:27], vcc, v[8:9], v[10:11], v[8:9]
	v_fma_f64 v[28:29], -v[12:13], v[24:25], 1.0
	v_fmac_f64_e32 v[24:25], v[24:25], v[28:29]
	v_fma_f64 v[28:29], -v[12:13], v[24:25], 1.0
	v_fmac_f64_e32 v[24:25], v[24:25], v[28:29]
	v_mul_f64 v[28:29], v[26:27], v[24:25]
	v_fma_f64 v[12:13], -v[12:13], v[28:29], v[26:27]
	v_div_fmas_f64 v[12:13], v[12:13], v[24:25], v[28:29]
	v_div_fixup_f64 v[8:9], v[12:13], v[10:11], v[8:9]
	v_fma_f64 v[8:9], v[8:9], v[8:9], 1.0
	v_cmp_gt_f64_e32 vcc, s[20:21], v[8:9]
	v_cndmask_b32_e64 v12, 0, 1, vcc
	v_lshlrev_b32_e32 v12, 8, v12
	v_ldexp_f64 v[8:9], v[8:9], v12
	v_rsq_f64_e32 v[12:13], v[8:9]
	v_mul_f64 v[24:25], v[8:9], v[12:13]
	v_mul_f64 v[12:13], v[12:13], 0.5
	v_fma_f64 v[26:27], -v[12:13], v[24:25], 0.5
	v_fmac_f64_e32 v[24:25], v[24:25], v[26:27]
	v_fma_f64 v[28:29], -v[24:25], v[24:25], v[8:9]
	v_fmac_f64_e32 v[12:13], v[12:13], v[26:27]
	v_fmac_f64_e32 v[24:25], v[28:29], v[12:13]
	v_fma_f64 v[26:27], -v[24:25], v[24:25], v[8:9]
	v_fmac_f64_e32 v[24:25], v[26:27], v[12:13]
	v_cndmask_b32_e32 v12, 0, v21, vcc
	v_ldexp_f64 v[12:13], v[24:25], v12
	v_cmp_class_f64_e32 vcc, v[8:9], v1
	v_cndmask_b32_e32 v9, v13, v9, vcc
	v_cndmask_b32_e32 v8, v12, v8, vcc
	v_mul_f64 v[12:13], v[10:11], v[8:9]
.LBB23_72:                              ;   in Loop: Header=BB23_65 Depth=1
	s_or_b64 exec, exec, s[22:23]
                                        ; implicit-def: $vgpr8_vgpr9
                                        ; implicit-def: $vgpr10_vgpr11
.LBB23_73:                              ;   in Loop: Header=BB23_65 Depth=1
	s_andn2_saveexec_b64 s[4:5], s[4:5]
	s_cbranch_execz .LBB23_75
; %bb.74:                               ;   in Loop: Header=BB23_65 Depth=1
	v_div_scale_f64 v[12:13], s[22:23], v[8:9], v[8:9], v[10:11]
	v_rcp_f64_e32 v[24:25], v[12:13]
	v_div_scale_f64 v[26:27], vcc, v[10:11], v[8:9], v[10:11]
	v_fma_f64 v[28:29], -v[12:13], v[24:25], 1.0
	v_fmac_f64_e32 v[24:25], v[24:25], v[28:29]
	v_fma_f64 v[28:29], -v[12:13], v[24:25], 1.0
	v_fmac_f64_e32 v[24:25], v[24:25], v[28:29]
	v_mul_f64 v[28:29], v[26:27], v[24:25]
	v_fma_f64 v[12:13], -v[12:13], v[28:29], v[26:27]
	v_div_fmas_f64 v[12:13], v[12:13], v[24:25], v[28:29]
	v_div_fixup_f64 v[10:11], v[12:13], v[8:9], v[10:11]
	v_fma_f64 v[10:11], v[10:11], v[10:11], 1.0
	v_cmp_gt_f64_e32 vcc, s[20:21], v[10:11]
	v_cndmask_b32_e64 v12, 0, 1, vcc
	v_lshlrev_b32_e32 v12, 8, v12
	v_ldexp_f64 v[10:11], v[10:11], v12
	v_rsq_f64_e32 v[12:13], v[10:11]
	v_mul_f64 v[24:25], v[10:11], v[12:13]
	v_mul_f64 v[12:13], v[12:13], 0.5
	v_fma_f64 v[26:27], -v[12:13], v[24:25], 0.5
	v_fmac_f64_e32 v[24:25], v[24:25], v[26:27]
	v_fma_f64 v[28:29], -v[24:25], v[24:25], v[10:11]
	v_fmac_f64_e32 v[12:13], v[12:13], v[26:27]
	v_fmac_f64_e32 v[24:25], v[28:29], v[12:13]
	v_fma_f64 v[26:27], -v[24:25], v[24:25], v[10:11]
	v_fmac_f64_e32 v[24:25], v[26:27], v[12:13]
	v_cndmask_b32_e32 v12, 0, v21, vcc
	v_ldexp_f64 v[12:13], v[24:25], v12
	v_cmp_class_f64_e32 vcc, v[10:11], v1
	v_cndmask_b32_e32 v11, v13, v11, vcc
	v_cndmask_b32_e32 v10, v12, v10, vcc
	v_mul_f64 v[12:13], v[8:9], v[10:11]
.LBB23_75:                              ;   in Loop: Header=BB23_65 Depth=1
	s_or_b64 exec, exec, s[4:5]
	v_cmp_le_f64_e32 vcc, v[12:13], v[6:7]
	v_cndmask_b32_e32 v8, v19, v17, vcc
	buffer_load_dword v9, v8, s[0:3], 0 offen
	buffer_load_dword v10, v8, s[0:3], 0 offen offset:4
	buffer_load_dword v11, v8, s[0:3], 0 offen offset:8
	;; [unrolled: 1-line block ×3, first 2 shown]
	s_waitcnt vmcnt(3)
	buffer_store_dword v9, off, s[0:3], 0 offset:16
	s_waitcnt vmcnt(3)
	buffer_store_dword v10, off, s[0:3], 0 offset:20
	s_waitcnt vmcnt(3)
	buffer_store_dword v11, off, s[0:3], 0 offset:24
	s_waitcnt vmcnt(3)
	buffer_store_dword v12, off, s[0:3], 0 offset:28
	s_and_saveexec_b64 s[4:5], s[8:9]
	s_cbranch_execz .LBB23_77
; %bb.76:                               ;   in Loop: Header=BB23_65 Depth=1
	buffer_load_dword v8, off, s[0:3], 0 offset:16
	buffer_load_dword v9, off, s[0:3], 0 offset:20
	;; [unrolled: 1-line block ×4, first 2 shown]
	s_waitcnt vmcnt(0)
	ds_write2_b64 v22, v[8:9], v[10:11] offset1:1
.LBB23_77:                              ;   in Loop: Header=BB23_65 Depth=1
	s_or_b64 exec, exec, s[4:5]
	s_mov_b64 s[22:23], -1
	s_mov_b64 s[4:5], 0
	s_branch .LBB23_67
.LBB23_78:                              ;   in Loop: Header=BB23_65 Depth=1
	v_cmp_neq_f64_e32 vcc, 0, v[2:3]
	v_cmp_neq_f64_e64 s[4:5], 0, v[4:5]
	s_or_b64 s[26:27], vcc, s[4:5]
	s_andn2_b64 s[22:23], s[22:23], exec
	s_and_b64 s[26:27], s[26:27], exec
	s_mov_b64 s[4:5], -1
	s_or_b64 s[22:23], s[22:23], s[26:27]
	v_add_u32_e32 v8, 1, v18
	s_and_saveexec_b64 s[26:27], s[22:23]
	s_xor_b64 s[22:23], exec, s[26:27]
	s_cbranch_execz .LBB23_68
.LBB23_79:                              ;   in Loop: Header=BB23_65 Depth=1
	v_add_u32_e32 v18, 1, v18
	v_add_u32_e32 v2, v18, v14
	v_cmp_gt_i32_e32 vcc, s19, v2
	s_and_saveexec_b64 s[26:27], vcc
	s_cbranch_execz .LBB23_84
; %bb.80:                               ;   in Loop: Header=BB23_65 Depth=1
	buffer_load_dword v10, off, s[0:3], 0 offset:24
	buffer_load_dword v11, off, s[0:3], 0 offset:28
	;; [unrolled: 1-line block ×4, first 2 shown]
	v_lshl_add_u32 v9, v14, 4, v22
	ds_read_b128 v[2:5], v9 offset:16
	s_waitcnt vmcnt(2) lgkmcnt(0)
	v_mul_f64 v[24:25], v[10:11], v[10:11]
	v_mul_f64 v[26:27], v[4:5], v[10:11]
	s_waitcnt vmcnt(0)
	v_fmac_f64_e32 v[24:25], v[12:13], v[12:13]
	v_mul_f64 v[10:11], v[10:11], -v[2:3]
	v_fmac_f64_e32 v[26:27], v[2:3], v[12:13]
	v_div_scale_f64 v[2:3], s[36:37], v[24:25], v[24:25], 1.0
	v_rcp_f64_e32 v[28:29], v[2:3]
	v_fmac_f64_e32 v[10:11], v[4:5], v[12:13]
	v_div_scale_f64 v[4:5], vcc, 1.0, v[24:25], 1.0
	v_fma_f64 v[12:13], -v[2:3], v[28:29], 1.0
	v_fmac_f64_e32 v[28:29], v[28:29], v[12:13]
	v_fma_f64 v[12:13], -v[2:3], v[28:29], 1.0
	v_fmac_f64_e32 v[28:29], v[28:29], v[12:13]
	v_mul_f64 v[12:13], v[4:5], v[28:29]
	v_fma_f64 v[2:3], -v[2:3], v[12:13], v[4:5]
	v_div_fmas_f64 v[2:3], v[2:3], v[28:29], v[12:13]
	v_div_fixup_f64 v[4:5], v[2:3], v[24:25], 1.0
	v_mul_f64 v[2:3], v[26:27], v[4:5]
	v_mul_f64 v[4:5], v[10:11], v[4:5]
	s_and_saveexec_b64 s[36:37], s[10:11]
	s_cbranch_execz .LBB23_82
; %bb.81:                               ;   in Loop: Header=BB23_65 Depth=1
	ds_write_b128 v9, v[2:5] offset:16
.LBB23_82:                              ;   in Loop: Header=BB23_65 Depth=1
	s_or_b64 exec, exec, s[36:37]
	v_add_u32_e32 v10, v18, v15
	v_cmp_gt_i32_e32 vcc, s19, v10
	s_and_b64 exec, exec, vcc
	s_cbranch_execz .LBB23_84
; %bb.83:                               ;   in Loop: Header=BB23_65 Depth=1
	v_add_u32_e32 v10, v22, v20
	v_add_u32_e32 v9, v9, v20
	ds_read_b128 v[10:13], v10 offset:144
	ds_read_b128 v[22:25], v9 offset:160
	s_waitcnt lgkmcnt(0)
	v_fma_f64 v[22:23], -v[2:3], v[10:11], v[22:23]
	v_fma_f64 v[10:11], -v[4:5], v[10:11], v[24:25]
	v_fmac_f64_e32 v[22:23], v[4:5], v[12:13]
	v_fma_f64 v[24:25], -v[2:3], v[12:13], v[10:11]
	ds_write_b128 v9, v[22:25] offset:160
.LBB23_84:                              ;   in Loop: Header=BB23_65 Depth=1
	s_or_b64 exec, exec, s[26:27]
	s_and_b64 s[44:45], s[44:45], exec
	s_andn2_b64 s[4:5], s[4:5], exec
	s_or_b64 exec, exec, s[22:23]
	s_and_saveexec_b64 s[22:23], s[4:5]
	s_cbranch_execz .LBB23_64
.LBB23_85:                              ;   in Loop: Header=BB23_65 Depth=1
	s_or_b64 s[44:45], s[44:45], exec
	v_mov_b32_e32 v18, v8
	s_branch .LBB23_64
.LBB23_86:
	s_mov_b64 s[12:13], -1
	s_branch .LBB23_114
.LBB23_87:
	s_mov_b64 s[12:13], s[44:45]
	s_add_i32 s16, s40, 1
	s_cmp_ge_i32 s16, s31
	s_cbranch_scc0 .LBB23_91
	s_branch .LBB23_114
.LBB23_88:
	s_or_b64 exec, exec, s[14:15]
	s_waitcnt lgkmcnt(0)
	s_and_saveexec_b64 s[4:5], s[6:7]
	s_cbranch_execz .LBB23_90
.LBB23_89:
	s_cmp_eq_u32 s42, 0
	s_cselect_b64 vcc, -1, 0
	s_mul_i32 s6, s40, s19
	v_cndmask_b32_e32 v1, v15, v14, vcc
	v_cndmask_b32_e32 v2, v14, v15, vcc
	v_add_u32_e32 v1, s6, v1
	v_mad_u64_u32 v[2:3], s[6:7], v1, s19, v[2:3]
	v_mov_b32_e32 v3, 0
	v_lshlrev_b64 v[6:7], 4, v[2:3]
	ds_read2_b64 v[2:5], v16 offset1:1
	v_mov_b32_e32 v1, s25
	v_add_co_u32_e32 v6, vcc, s24, v6
	v_addc_co_u32_e32 v7, vcc, v1, v7, vcc
	s_waitcnt lgkmcnt(0)
	global_store_dwordx4 v[6:7], v[2:5], off
.LBB23_90:
	s_or_b64 exec, exec, s[4:5]
	s_add_i32 s16, s40, 1
	s_cmp_ge_i32 s16, s31
	s_cbranch_scc1 .LBB23_114
.LBB23_91:
	s_cmp_eq_u32 s42, 0
	v_bfe_u32 v1, v0, 10, 10
	v_and_b32_e32 v2, 0x3ff, v0
	s_cselect_b64 vcc, -1, 0
	s_cmp_gt_i32 s19, 0
	v_lshlrev_b32_e32 v3, 4, v2
	v_mul_u32_u24_e32 v4, 0x90, v1
	s_movk_i32 s4, 0x480
	s_cselect_b64 s[6:7], -1, 0
	s_add_i32 s8, s19, -1
	s_and_b32 s17, s19, 3
	s_movk_i32 s14, 0x90
	v_add3_u32 v7, v4, v3, s4
	v_max_u32_e32 v3, v2, v1
	s_cmp_gt_u32 s8, 2
	v_mov_b32_e32 v4, 0x480
	v_cmp_gt_u32_e64 s[4:5], s19, v3
	v_cndmask_b32_e32 v8, v1, v2, vcc
	v_cndmask_b32_e32 v6, v2, v1, vcc
	s_cselect_b64 s[8:9], -1, 0
	s_and_b32 s20, s19, 0x7ffffffc
	v_mul_u32_u24_e32 v3, 0x90, v2
	v_mad_u32_u24 v10, v2, s14, v4
	v_cndmask_b32_e64 v2, 0, 1, s[6:7]
	s_cmp_lg_u32 s17, 0
	v_lshlrev_b32_e32 v9, 4, v1
	s_movk_i32 s14, 0x490
	v_cmp_ne_u32_e64 s[6:7], 1, v2
	v_cndmask_b32_e64 v2, 0, 1, s[8:9]
	s_cselect_b64 s[10:11], -1, 0
	v_add_u32_e32 v11, 16, v9
	v_add3_u32 v12, v3, v9, s14
	v_mov_b32_e32 v13, 0
	v_cmp_ne_u32_e64 s[8:9], 1, v2
	s_branch .LBB23_93
.LBB23_92:                              ;   in Loop: Header=BB23_93 Depth=1
	s_or_b64 exec, exec, s[14:15]
	s_add_i32 s16, s16, 1
	s_cmp_lt_i32 s16, s31
	s_cbranch_scc0 .LBB23_114
.LBB23_93:                              ; =>This Loop Header: Depth=1
                                        ;     Child Loop BB23_99 Depth 2
                                        ;     Child Loop BB23_110 Depth 2
	v_pk_mov_b32 v[4:5], 0, 0
	s_mul_i32 s14, s16, s19
	v_add_u32_e32 v14, s14, v8
	v_pk_mov_b32 v[2:3], v[4:5], v[4:5] op_sel:[0,1]
	s_waitcnt lgkmcnt(0)
	s_and_saveexec_b64 s[14:15], s[4:5]
	s_cbranch_execz .LBB23_95
; %bb.94:                               ;   in Loop: Header=BB23_93 Depth=1
	v_mad_u64_u32 v[2:3], s[22:23], v14, s19, v[6:7]
	v_mov_b32_e32 v3, v13
	v_lshlrev_b64 v[2:3], 4, v[2:3]
	v_mov_b32_e32 v4, s25
	v_add_co_u32_e32 v2, vcc, s24, v2
	v_addc_co_u32_e32 v3, vcc, v4, v3, vcc
	global_load_dwordx4 v[2:5], v[2:3], off
.LBB23_95:                              ;   in Loop: Header=BB23_93 Depth=1
	s_or_b64 exec, exec, s[14:15]
	s_and_b64 vcc, exec, s[6:7]
	s_waitcnt vmcnt(0)
	ds_write_b128 v7, v[2:5]
	s_waitcnt lgkmcnt(0)
	s_cbranch_vccnz .LBB23_112
; %bb.96:                               ;   in Loop: Header=BB23_93 Depth=1
	s_and_b64 vcc, exec, s[8:9]
	s_mov_b32 s14, 0
	s_cbranch_vccnz .LBB23_107
; %bb.97:                               ;   in Loop: Header=BB23_93 Depth=1
	s_mov_b32 s21, 0
	s_mov_b32 s22, 16
	v_mov_b32_e32 v2, v10
	s_branch .LBB23_99
.LBB23_98:                              ;   in Loop: Header=BB23_99 Depth=2
	s_or_b64 exec, exec, s[14:15]
	s_add_i32 s21, s21, 4
	s_addk_i32 s22, 0x280
	v_add_u32_e32 v2, 64, v2
	s_cmp_eq_u32 s20, s21
	s_mov_b32 s14, s20
	s_cbranch_scc1 .LBB23_107
.LBB23_99:                              ;   Parent Loop BB23_93 Depth=1
                                        ; =>  This Inner Loop Header: Depth=2
	v_add_u32_e32 v5, s21, v1
	v_add_u32_e32 v3, 1, v5
	v_cmp_gt_i32_e32 vcc, s19, v3
	v_add_u32_e32 v4, s22, v9
	v_add_u32_e32 v3, v2, v9
	s_and_saveexec_b64 s[14:15], vcc
	s_cbranch_execz .LBB23_101
; %bb.100:                              ;   in Loop: Header=BB23_99 Depth=2
	ds_read_b128 v[16:19], v4
	ds_read_b128 v[20:23], v2
	ds_read_b128 v[24:27], v3 offset:16
	s_waitcnt lgkmcnt(0)
	v_fma_f64 v[24:25], -v[16:17], v[20:21], v[24:25]
	v_fma_f64 v[20:21], -v[18:19], v[20:21], v[26:27]
	v_fmac_f64_e32 v[24:25], v[18:19], v[22:23]
	v_fma_f64 v[26:27], -v[16:17], v[22:23], v[20:21]
	ds_write_b128 v3, v[24:27] offset:16
.LBB23_101:                             ;   in Loop: Header=BB23_99 Depth=2
	s_or_b64 exec, exec, s[14:15]
	v_add_u32_e32 v15, 2, v5
	v_cmp_gt_i32_e32 vcc, s19, v15
	s_and_saveexec_b64 s[14:15], vcc
	s_cbranch_execz .LBB23_103
; %bb.102:                              ;   in Loop: Header=BB23_99 Depth=2
	ds_read_b128 v[16:19], v4 offset:160
	ds_read_b128 v[20:23], v2 offset:16
	;; [unrolled: 1-line block ×3, first 2 shown]
	s_waitcnt lgkmcnt(0)
	v_fma_f64 v[24:25], -v[16:17], v[20:21], v[24:25]
	v_fma_f64 v[20:21], -v[18:19], v[20:21], v[26:27]
	v_fmac_f64_e32 v[24:25], v[18:19], v[22:23]
	v_fma_f64 v[26:27], -v[16:17], v[22:23], v[20:21]
	ds_write_b128 v3, v[24:27] offset:32
.LBB23_103:                             ;   in Loop: Header=BB23_99 Depth=2
	s_or_b64 exec, exec, s[14:15]
	v_add_u32_e32 v15, 3, v5
	v_cmp_gt_i32_e32 vcc, s19, v15
	s_and_saveexec_b64 s[14:15], vcc
	s_cbranch_execz .LBB23_105
; %bb.104:                              ;   in Loop: Header=BB23_99 Depth=2
	ds_read_b128 v[16:19], v4 offset:320
	ds_read_b128 v[20:23], v2 offset:32
	;; [unrolled: 1-line block ×3, first 2 shown]
	s_waitcnt lgkmcnt(0)
	v_fma_f64 v[24:25], -v[16:17], v[20:21], v[24:25]
	v_fma_f64 v[20:21], -v[18:19], v[20:21], v[26:27]
	v_fmac_f64_e32 v[24:25], v[18:19], v[22:23]
	v_fma_f64 v[26:27], -v[16:17], v[22:23], v[20:21]
	ds_write_b128 v3, v[24:27] offset:48
.LBB23_105:                             ;   in Loop: Header=BB23_99 Depth=2
	s_or_b64 exec, exec, s[14:15]
	v_add_u32_e32 v5, 4, v5
	v_cmp_gt_i32_e32 vcc, s19, v5
	s_and_saveexec_b64 s[14:15], vcc
	s_cbranch_execz .LBB23_98
; %bb.106:                              ;   in Loop: Header=BB23_99 Depth=2
	ds_read_b128 v[16:19], v4 offset:480
	ds_read_b128 v[20:23], v2 offset:48
	;; [unrolled: 1-line block ×3, first 2 shown]
	s_waitcnt lgkmcnt(0)
	v_fma_f64 v[24:25], -v[16:17], v[20:21], v[24:25]
	v_fma_f64 v[4:5], -v[18:19], v[20:21], v[26:27]
	v_fmac_f64_e32 v[24:25], v[18:19], v[22:23]
	v_fma_f64 v[26:27], -v[16:17], v[22:23], v[4:5]
	ds_write_b128 v3, v[24:27] offset:64
	s_branch .LBB23_98
.LBB23_107:                             ;   in Loop: Header=BB23_93 Depth=1
	s_andn2_b64 vcc, exec, s[10:11]
	s_cbranch_vccnz .LBB23_112
; %bb.108:                              ;   in Loop: Header=BB23_93 Depth=1
	s_mul_i32 s15, s14, 0xa0
	v_add_u32_e32 v3, s14, v1
	s_lshl_b32 s14, s14, 4
	v_add_u32_e32 v2, s15, v11
	v_add_u32_e32 v4, s14, v12
	;; [unrolled: 1-line block ×3, first 2 shown]
	s_mov_b32 s21, s17
	s_branch .LBB23_110
.LBB23_109:                             ;   in Loop: Header=BB23_110 Depth=2
	s_or_b64 exec, exec, s[14:15]
	s_add_i32 s21, s21, -1
	v_add_u32_e32 v2, 0xa0, v2
	v_add_u32_e32 v4, 16, v4
	s_cmp_lg_u32 s21, 0
	v_add_u32_e32 v5, 16, v5
	s_cbranch_scc0 .LBB23_112
.LBB23_110:                             ;   Parent Loop BB23_93 Depth=1
                                        ; =>  This Inner Loop Header: Depth=2
	v_add_u32_e32 v3, 1, v3
	v_cmp_gt_i32_e32 vcc, s19, v3
	s_and_saveexec_b64 s[14:15], vcc
	s_cbranch_execz .LBB23_109
; %bb.111:                              ;   in Loop: Header=BB23_110 Depth=2
	ds_read_b128 v[16:19], v2
	ds_read_b128 v[20:23], v5
	;; [unrolled: 1-line block ×3, first 2 shown]
	s_waitcnt lgkmcnt(0)
	v_fma_f64 v[24:25], -v[16:17], v[20:21], v[24:25]
	v_fma_f64 v[20:21], -v[18:19], v[20:21], v[26:27]
	v_fmac_f64_e32 v[24:25], v[18:19], v[22:23]
	v_fma_f64 v[26:27], -v[16:17], v[22:23], v[20:21]
	ds_write_b128 v4, v[24:27]
	s_branch .LBB23_109
.LBB23_112:                             ;   in Loop: Header=BB23_93 Depth=1
	s_waitcnt lgkmcnt(0)
	s_and_saveexec_b64 s[14:15], s[4:5]
	s_cbranch_execz .LBB23_92
; %bb.113:                              ;   in Loop: Header=BB23_93 Depth=1
	v_mad_u64_u32 v[2:3], s[22:23], v14, s19, v[6:7]
	v_mov_b32_e32 v3, v13
	v_lshlrev_b64 v[14:15], 4, v[2:3]
	ds_read2_b64 v[2:5], v7 offset1:1
	v_mov_b32_e32 v16, s25
	v_add_co_u32_e32 v14, vcc, s24, v14
	v_addc_co_u32_e32 v15, vcc, v16, v15, vcc
	s_waitcnt lgkmcnt(0)
	global_store_dwordx4 v[14:15], v[2:5], off
	s_branch .LBB23_92
.LBB23_114:
	v_and_b32_e32 v1, 0x3ff, v0
	v_bfe_u32 v0, v0, 10, 10
	v_or_b32_e32 v0, v1, v0
	v_cmp_eq_u32_e32 vcc, 0, v0
	s_and_saveexec_b64 s[4:5], vcc
	s_cbranch_execz .LBB23_118
; %bb.115:
	s_add_u32 s4, s28, s38
	s_addc_u32 s5, s29, s39
	v_mov_b32_e32 v0, 0
	v_mov_b32_e32 v1, 1
	s_waitcnt vmcnt(0)
	global_store_dword v0, v1, s[4:5]
	s_and_b64 exec, exec, s[12:13]
	s_cbranch_execz .LBB23_118
; %bb.116:
	v_mbcnt_lo_u32_b32 v0, exec_lo, 0
	v_mbcnt_hi_u32_b32 v0, exec_hi, v0
	v_cmp_eq_u32_e32 vcc, 0, v0
	s_and_b64 exec, exec, vcc
	s_cbranch_execz .LBB23_118
; %bb.117:
	s_add_i32 s4, s30, s18
	v_mov_b32_e32 v0, 0
	v_mov_b32_e32 v1, s4
	global_atomic_smin v0, v1, s[34:35]
.LBB23_118:
	s_endpgm
.LBB23_119:
	s_mov_b64 s[12:13], s[44:45]
	s_and_saveexec_b64 s[4:5], s[6:7]
	s_cbranch_execnz .LBB23_89
	s_branch .LBB23_90
	.section	.rodata,"a",@progbits
	.p2align	6, 0x0
	.amdhsa_kernel _ZN9rocsparseL11bsrilu0_2_8ILj64ELj64ELj8E21rocsparse_complex_numIdEEEv20rocsparse_direction_iPKiS5_PT2_S5_iPiS5_S8_21rocsparse_index_base_imNS_24const_host_device_scalarIfEENSA_IdEENSA_IS6_EEb
		.amdhsa_group_segment_fixed_size 2304
		.amdhsa_private_segment_fixed_size 48
		.amdhsa_kernarg_size 384
		.amdhsa_user_sgpr_count 8
		.amdhsa_user_sgpr_private_segment_buffer 1
		.amdhsa_user_sgpr_dispatch_ptr 0
		.amdhsa_user_sgpr_queue_ptr 0
		.amdhsa_user_sgpr_kernarg_segment_ptr 1
		.amdhsa_user_sgpr_dispatch_id 0
		.amdhsa_user_sgpr_flat_scratch_init 1
		.amdhsa_user_sgpr_kernarg_preload_length 0
		.amdhsa_user_sgpr_kernarg_preload_offset 0
		.amdhsa_user_sgpr_private_segment_size 0
		.amdhsa_uses_dynamic_stack 0
		.amdhsa_system_sgpr_private_segment_wavefront_offset 1
		.amdhsa_system_sgpr_workgroup_id_x 1
		.amdhsa_system_sgpr_workgroup_id_y 0
		.amdhsa_system_sgpr_workgroup_id_z 0
		.amdhsa_system_sgpr_workgroup_info 0
		.amdhsa_system_vgpr_workitem_id 1
		.amdhsa_next_free_vgpr 46
		.amdhsa_next_free_sgpr 62
		.amdhsa_accum_offset 48
		.amdhsa_reserve_vcc 1
		.amdhsa_reserve_flat_scratch 1
		.amdhsa_float_round_mode_32 0
		.amdhsa_float_round_mode_16_64 0
		.amdhsa_float_denorm_mode_32 3
		.amdhsa_float_denorm_mode_16_64 3
		.amdhsa_dx10_clamp 1
		.amdhsa_ieee_mode 1
		.amdhsa_fp16_overflow 0
		.amdhsa_tg_split 0
		.amdhsa_exception_fp_ieee_invalid_op 0
		.amdhsa_exception_fp_denorm_src 0
		.amdhsa_exception_fp_ieee_div_zero 0
		.amdhsa_exception_fp_ieee_overflow 0
		.amdhsa_exception_fp_ieee_underflow 0
		.amdhsa_exception_fp_ieee_inexact 0
		.amdhsa_exception_int_div_zero 0
	.end_amdhsa_kernel
	.section	.text._ZN9rocsparseL11bsrilu0_2_8ILj64ELj64ELj8E21rocsparse_complex_numIdEEEv20rocsparse_direction_iPKiS5_PT2_S5_iPiS5_S8_21rocsparse_index_base_imNS_24const_host_device_scalarIfEENSA_IdEENSA_IS6_EEb,"axG",@progbits,_ZN9rocsparseL11bsrilu0_2_8ILj64ELj64ELj8E21rocsparse_complex_numIdEEEv20rocsparse_direction_iPKiS5_PT2_S5_iPiS5_S8_21rocsparse_index_base_imNS_24const_host_device_scalarIfEENSA_IdEENSA_IS6_EEb,comdat
.Lfunc_end23:
	.size	_ZN9rocsparseL11bsrilu0_2_8ILj64ELj64ELj8E21rocsparse_complex_numIdEEEv20rocsparse_direction_iPKiS5_PT2_S5_iPiS5_S8_21rocsparse_index_base_imNS_24const_host_device_scalarIfEENSA_IdEENSA_IS6_EEb, .Lfunc_end23-_ZN9rocsparseL11bsrilu0_2_8ILj64ELj64ELj8E21rocsparse_complex_numIdEEEv20rocsparse_direction_iPKiS5_PT2_S5_iPiS5_S8_21rocsparse_index_base_imNS_24const_host_device_scalarIfEENSA_IdEENSA_IS6_EEb
                                        ; -- End function
	.section	.AMDGPU.csdata,"",@progbits
; Kernel info:
; codeLenInByte = 5448
; NumSgprs: 68
; NumVgprs: 46
; NumAgprs: 0
; TotalNumVgprs: 46
; ScratchSize: 48
; MemoryBound: 0
; FloatMode: 240
; IeeeMode: 1
; LDSByteSize: 2304 bytes/workgroup (compile time only)
; SGPRBlocks: 8
; VGPRBlocks: 5
; NumSGPRsForWavesPerEU: 68
; NumVGPRsForWavesPerEU: 46
; AccumOffset: 48
; Occupancy: 7
; WaveLimiterHint : 1
; COMPUTE_PGM_RSRC2:SCRATCH_EN: 1
; COMPUTE_PGM_RSRC2:USER_SGPR: 8
; COMPUTE_PGM_RSRC2:TRAP_HANDLER: 0
; COMPUTE_PGM_RSRC2:TGID_X_EN: 1
; COMPUTE_PGM_RSRC2:TGID_Y_EN: 0
; COMPUTE_PGM_RSRC2:TGID_Z_EN: 0
; COMPUTE_PGM_RSRC2:TIDIG_COMP_CNT: 1
; COMPUTE_PGM_RSRC3_GFX90A:ACCUM_OFFSET: 11
; COMPUTE_PGM_RSRC3_GFX90A:TG_SPLIT: 0
	.section	.text._ZN9rocsparseL12bsrilu0_9_32ILj64ELj64ELj16E21rocsparse_complex_numIdEEEv20rocsparse_direction_iPKiS5_PT2_S5_iPiS5_S8_21rocsparse_index_base_imNS_24const_host_device_scalarIfEENSA_IdEENSA_IS6_EEb,"axG",@progbits,_ZN9rocsparseL12bsrilu0_9_32ILj64ELj64ELj16E21rocsparse_complex_numIdEEEv20rocsparse_direction_iPKiS5_PT2_S5_iPiS5_S8_21rocsparse_index_base_imNS_24const_host_device_scalarIfEENSA_IdEENSA_IS6_EEb,comdat
	.globl	_ZN9rocsparseL12bsrilu0_9_32ILj64ELj64ELj16E21rocsparse_complex_numIdEEEv20rocsparse_direction_iPKiS5_PT2_S5_iPiS5_S8_21rocsparse_index_base_imNS_24const_host_device_scalarIfEENSA_IdEENSA_IS6_EEb ; -- Begin function _ZN9rocsparseL12bsrilu0_9_32ILj64ELj64ELj16E21rocsparse_complex_numIdEEEv20rocsparse_direction_iPKiS5_PT2_S5_iPiS5_S8_21rocsparse_index_base_imNS_24const_host_device_scalarIfEENSA_IdEENSA_IS6_EEb
	.p2align	8
	.type	_ZN9rocsparseL12bsrilu0_9_32ILj64ELj64ELj16E21rocsparse_complex_numIdEEEv20rocsparse_direction_iPKiS5_PT2_S5_iPiS5_S8_21rocsparse_index_base_imNS_24const_host_device_scalarIfEENSA_IdEENSA_IS6_EEb,@function
_ZN9rocsparseL12bsrilu0_9_32ILj64ELj64ELj16E21rocsparse_complex_numIdEEEv20rocsparse_direction_iPKiS5_PT2_S5_iPiS5_S8_21rocsparse_index_base_imNS_24const_host_device_scalarIfEENSA_IdEENSA_IS6_EEb: ; @_ZN9rocsparseL12bsrilu0_9_32ILj64ELj64ELj16E21rocsparse_complex_numIdEEEv20rocsparse_direction_iPKiS5_PT2_S5_iPiS5_S8_21rocsparse_index_base_imNS_24const_host_device_scalarIfEENSA_IdEENSA_IS6_EEb
; %bb.0:
	s_add_u32 flat_scratch_lo, s6, s9
	s_load_dword s6, s[4:5], 0x78
	s_load_dwordx8 s[36:43], s[4:5], 0x50
	s_load_dwordx2 s[10:11], s[4:5], 0x70
	s_load_dwordx2 s[18:19], s[4:5], 0x48
	s_addc_u32 flat_scratch_hi, s7, 0
	s_add_u32 s0, s0, s9
	s_addc_u32 s1, s1, 0
	s_waitcnt lgkmcnt(0)
	s_bitcmp1_b32 s6, 0
	s_cselect_b64 s[6:7], -1, 0
	s_cmp_lg_u32 s19, 0
	s_cselect_b64 s[12:13], -1, 0
	s_cmp_eq_u32 s19, 0
	s_cselect_b64 s[20:21], -1, 0
	s_and_b64 s[14:15], s[20:21], exec
	v_mov_b32_e32 v1, s42
	s_cselect_b32 s16, 0, s40
	s_cselect_b32 s17, 0, s41
	s_or_b64 s[22:23], s[20:21], s[6:7]
	buffer_store_dword v1, off, s[0:3], 0 offset:32
	v_mov_b32_e32 v1, s43
	s_xor_b64 s[14:15], s[22:23], -1
	s_and_b64 vcc, exec, s[22:23]
	buffer_store_dword v1, off, s[0:3], 0 offset:36
	s_cbranch_vccnz .LBB24_2
; %bb.1:
	s_load_dword s9, s[38:39], 0x0
	s_mov_b64 s[16:17], s[40:41]
	s_waitcnt lgkmcnt(0)
	v_mov_b32_e32 v1, s9
	s_andn2_b64 vcc, exec, s[14:15]
	v_pk_mov_b32 v[10:11], s[16:17], s[16:17] op_sel:[0,1]
	s_cbranch_vccz .LBB24_3
	s_branch .LBB24_4
.LBB24_2:
	v_mov_b32_e32 v1, s38
	v_cndmask_b32_e64 v1, v1, 0, s[20:21]
	s_andn2_b64 vcc, exec, s[14:15]
	v_pk_mov_b32 v[10:11], s[16:17], s[16:17] op_sel:[0,1]
	s_cbranch_vccnz .LBB24_4
.LBB24_3:
	v_pk_mov_b32 v[2:3], s[40:41], s[40:41] op_sel:[0,1]
	flat_load_dwordx2 v[10:11], v[2:3]
.LBB24_4:
	v_cndmask_b32_e64 v2, 0, 1, s[12:13]
	v_cmp_ne_u32_e64 s[16:17], 1, v2
	v_pk_mov_b32 v[2:3], 0, 0
	s_andn2_b64 vcc, exec, s[12:13]
	v_pk_mov_b32 v[4:5], v[2:3], v[2:3] op_sel:[0,1]
	s_cbranch_vccnz .LBB24_7
; %bb.5:
	s_xor_b64 s[14:15], s[6:7], -1
	s_mov_b64 s[12:13], src_private_base
	s_and_b64 s[20:21], s[6:7], exec
	s_cselect_b32 s9, s13, s43
	v_mov_b32_e32 v2, 32
	v_mov_b32_e32 v3, s42
	v_cndmask_b32_e64 v2, v3, v2, s[6:7]
	v_mov_b32_e32 v3, s9
	flat_load_dwordx2 v[2:3], v[2:3]
	s_andn2_b64 vcc, exec, s[14:15]
	v_pk_mov_b32 v[4:5], s[10:11], s[10:11] op_sel:[0,1]
	s_cbranch_vccnz .LBB24_7
; %bb.6:
	v_pk_mov_b32 v[4:5], s[42:43], s[42:43] op_sel:[0,1]
	flat_load_dwordx2 v[4:5], v[4:5] offset:8
.LBB24_7:
	s_load_dwordx4 s[28:31], s[4:5], 0x30
	s_load_dwordx2 s[34:35], s[4:5], 0x40
	s_mov_b32 s9, 0
	s_lshl_b64 s[6:7], s[8:9], 2
	s_waitcnt lgkmcnt(0)
	s_add_u32 s6, s30, s6
	s_addc_u32 s7, s31, s7
	s_load_dword s30, s[6:7], 0x0
	s_load_dwordx8 s[20:27], s[4:5], 0x8
	s_waitcnt lgkmcnt(0)
	s_ashr_i32 s31, s30, 31
	s_lshl_b64 s[38:39], s[30:31], 2
	s_add_u32 s6, s26, s38
	s_addc_u32 s7, s27, s39
	s_load_dword s40, s[6:7], 0x0
	s_waitcnt vmcnt(0)
	buffer_store_dword v3, off, s[0:3], 0 offset:4
	buffer_store_dword v2, off, s[0:3], 0
	buffer_store_dword v5, off, s[0:3], 0 offset:12
	buffer_store_dword v4, off, s[0:3], 0 offset:8
	s_waitcnt lgkmcnt(0)
	s_cmp_eq_u32 s40, -1
	s_cbranch_scc1 .LBB24_104
; %bb.8:
	s_add_u32 s6, s20, s38
	s_addc_u32 s7, s21, s39
	s_load_dwordx2 s[8:9], s[6:7], 0x0
	s_load_dwordx2 s[42:43], s[4:5], 0x0
	s_load_dword s19, s[4:5], 0x28
	s_mov_b64 s[44:45], 0
	s_waitcnt lgkmcnt(0)
	s_sub_i32 s46, s8, s18
	s_sub_i32 s31, s9, s18
	s_cmp_ge_i32 s46, s40
	s_cbranch_scc1 .LBB24_93
; %bb.9:
	v_bfe_u32 v19, v0, 10, 10
	v_and_b32_e32 v18, 0x3ff, v0
	v_lshlrev_b32_e32 v2, 4, v19
	s_cmp_lg_u32 s42, 0
	v_add3_u32 v12, v2, v18, s46
	s_cselect_b64 s[48:49], -1, 0
	s_cmp_gt_i32 s19, 0
	v_ashrrev_i32_e32 v13, 31, v12
	s_cselect_b64 s[50:51], -1, 0
	s_add_i32 s33, s43, 1
	v_lshlrev_b64 v[2:3], 2, v[12:13]
	s_mul_i32 s4, s19, s46
	v_add_co_u32_e32 v14, vcc, s22, v2
	s_add_u32 s41, s20, 4
	v_add_u32_e32 v2, s4, v18
	s_addc_u32 s43, s21, 0
	v_mul_lo_u32 v13, s19, v2
	s_movk_i32 s4, 0x110
	v_lshlrev_b32_e32 v2, 4, v18
	v_mov_b32_e32 v4, s23
	s_add_u32 s62, s22, 0x100
	v_mad_u32_u24 v22, v19, s4, v2
	v_add_u32_e32 v26, 0x1100, v2
	v_mbcnt_lo_u32_b32 v2, -1, 0
	v_cmp_gt_i32_e64 s[6:7], s19, v18
	v_cmp_le_i32_e64 s[8:9], s19, v18
	v_cmp_gt_i32_e64 s[10:11], s19, v19
	v_cmp_eq_u32_e64 s[12:13], 0, v19
	v_add_u32_e32 v20, 1, v19
	v_cmp_gt_i32_e64 s[14:15], s31, v12
	v_addc_co_u32_e32 v15, vcc, v4, v3, vcc
	s_addc_u32 s63, s23, 0
	s_mul_i32 s64, s19, s19
	s_lshl_b32 s65, s19, 4
	v_mul_u32_u24_e32 v21, 0x110, v19
	v_add_u32_e32 v23, 0x1100, v22
	v_add_u32_e32 v24, 0x1210, v22
	v_mad_u32_u24 v25, v19, s4, s4
	v_mov_b32_e32 v27, 0
	v_mbcnt_hi_u32_b32 v28, -1, v2
	s_branch .LBB24_12
.LBB24_10:                              ;   in Loop: Header=BB24_12 Depth=1
	s_mov_b64 s[44:45], -1
.LBB24_11:                              ;   in Loop: Header=BB24_12 Depth=1
	s_add_i32 s46, s46, 1
	s_cmp_lt_i32 s46, s40
	s_cselect_b64 s[4:5], -1, 0
	s_and_b64 s[4:5], s[20:21], s[4:5]
	v_add_u32_e32 v13, s64, v13
	s_and_b64 vcc, exec, s[4:5]
	s_cbranch_vccz .LBB24_93
.LBB24_12:                              ; =>This Loop Header: Depth=1
                                        ;     Child Loop BB24_15 Depth 2
                                        ;       Child Loop BB24_18 Depth 3
                                        ;     Child Loop BB24_24 Depth 2
                                        ;     Child Loop BB24_28 Depth 2
                                        ;       Child Loop BB24_31 Depth 3
                                        ;     Child Loop BB24_38 Depth 2
                                        ;       Child Loop BB24_41 Depth 3
                                        ;         Child Loop BB24_45 Depth 4
                                        ;     Child Loop BB24_49 Depth 2
                                        ;       Child Loop BB24_52 Depth 3
                                        ;     Child Loop BB24_61 Depth 2
                                        ;       Child Loop BB24_66 Depth 3
                                        ;       Child Loop BB24_75 Depth 3
                                        ;         Child Loop BB24_78 Depth 4
                                        ;       Child Loop BB24_84 Depth 3
                                        ;         Child Loop BB24_87 Depth 4
                                        ;           Child Loop BB24_88 Depth 5
	s_ashr_i32 s47, s46, 31
	s_lshl_b64 s[4:5], s[46:47], 2
	s_add_u32 s4, s22, s4
	s_addc_u32 s5, s23, s5
	global_load_dword v2, v27, s[4:5]
	s_waitcnt vmcnt(0)
	v_readfirstlane_b32 s47, v2
	s_and_saveexec_b64 s[4:5], s[6:7]
	s_cbranch_execz .LBB24_22
; %bb.13:                               ;   in Loop: Header=BB24_12 Depth=1
	s_mul_i32 s58, s46, s19
	s_mov_b64 s[20:21], 0
	v_mov_b32_e32 v3, v23
	v_mov_b32_e32 v6, v13
	;; [unrolled: 1-line block ×3, first 2 shown]
	s_branch .LBB24_15
.LBB24_14:                              ;   in Loop: Header=BB24_15 Depth=2
	s_or_b64 exec, exec, s[52:53]
	v_add_u32_e32 v2, 16, v2
	v_cmp_le_i32_e32 vcc, s19, v2
	v_add_u32_e32 v6, s65, v6
	s_or_b64 s[20:21], vcc, s[20:21]
	v_add_u32_e32 v3, 0x100, v3
	s_andn2_b64 exec, exec, s[20:21]
	s_cbranch_execz .LBB24_22
.LBB24_15:                              ;   Parent Loop BB24_12 Depth=1
                                        ; =>  This Loop Header: Depth=2
                                        ;       Child Loop BB24_18 Depth 3
	s_and_saveexec_b64 s[52:53], s[10:11]
	s_cbranch_execz .LBB24_14
; %bb.16:                               ;   in Loop: Header=BB24_15 Depth=2
	s_mov_b64 s[54:55], 0
	v_mov_b32_e32 v7, v3
	v_mov_b32_e32 v8, v19
	s_branch .LBB24_18
.LBB24_17:                              ;   in Loop: Header=BB24_18 Depth=3
	v_ashrrev_i32_e32 v5, 31, v4
	v_lshlrev_b64 v[4:5], 4, v[4:5]
	v_mov_b32_e32 v9, s25
	v_add_co_u32_e32 v4, vcc, s24, v4
	v_addc_co_u32_e32 v5, vcc, v9, v5, vcc
	global_load_dwordx4 v[30:33], v[4:5], off
	v_add_u32_e32 v8, 4, v8
	v_cmp_le_i32_e32 vcc, s19, v8
	s_or_b64 s[54:55], vcc, s[54:55]
	s_waitcnt vmcnt(0)
	ds_write2_b64 v7, v[30:31], v[32:33] offset1:1
	v_add_u32_e32 v7, 0x440, v7
	s_andn2_b64 exec, exec, s[54:55]
	s_cbranch_execz .LBB24_14
.LBB24_18:                              ;   Parent Loop BB24_12 Depth=1
                                        ;     Parent Loop BB24_15 Depth=2
                                        ; =>    This Inner Loop Header: Depth=3
	s_and_b64 vcc, exec, s[48:49]
	s_cbranch_vccz .LBB24_20
; %bb.19:                               ;   in Loop: Header=BB24_18 Depth=3
	v_add_u32_e32 v4, s58, v8
	v_mad_u64_u32 v[4:5], s[56:57], v4, s19, v[2:3]
	s_cbranch_execnz .LBB24_17
	s_branch .LBB24_21
.LBB24_20:                              ;   in Loop: Header=BB24_18 Depth=3
                                        ; implicit-def: $vgpr4
.LBB24_21:                              ;   in Loop: Header=BB24_18 Depth=3
	v_add_u32_e32 v4, v6, v8
	s_branch .LBB24_17
.LBB24_22:                              ;   in Loop: Header=BB24_12 Depth=1
	s_or_b64 exec, exec, s[4:5]
	s_sub_i32 s4, s47, s18
	s_ashr_i32 s5, s4, 31
	s_lshl_b64 s[4:5], s[4:5], 2
	s_add_u32 s20, s26, s4
	s_addc_u32 s21, s27, s5
	global_load_dword v2, v27, s[20:21]
	s_waitcnt vmcnt(0)
	v_readfirstlane_b32 s47, v2
	v_cmp_eq_u32_e32 vcc, -1, v2
	s_cmp_lg_u32 s47, -1
	s_cselect_b64 s[20:21], -1, 0
	s_cbranch_vccnz .LBB24_10
; %bb.23:                               ;   in Loop: Header=BB24_12 Depth=1
	s_add_u32 s52, s41, s4
	s_addc_u32 s53, s43, s5
	global_load_dword v2, v27, s[52:53]
	s_add_u32 s4, s28, s4
	s_addc_u32 s5, s29, s5
	s_waitcnt vmcnt(0)
	v_readfirstlane_b32 s60, v2
.LBB24_24:                              ;   Parent Loop BB24_12 Depth=1
                                        ; =>  This Inner Loop Header: Depth=2
	global_load_dword v2, v27, s[4:5] glc
	s_waitcnt vmcnt(0)
	v_cmp_eq_u32_e32 vcc, 0, v2
	s_cbranch_vccnz .LBB24_24
; %bb.25:                               ;   in Loop: Header=BB24_12 Depth=1
	s_waitcnt lgkmcnt(0)
	buffer_wbinvl1_vol
	s_and_saveexec_b64 s[4:5], s[6:7]
	s_cbranch_execz .LBB24_35
; %bb.26:                               ;   in Loop: Header=BB24_12 Depth=1
	s_mul_i32 s61, s47, s19
	v_add_u32_e32 v2, s61, v18
	v_mul_lo_u32 v3, s19, v2
	s_mov_b64 s[52:53], 0
	v_mov_b32_e32 v6, v22
	v_mov_b32_e32 v2, v18
	s_branch .LBB24_28
.LBB24_27:                              ;   in Loop: Header=BB24_28 Depth=2
	s_or_b64 exec, exec, s[54:55]
	v_add_u32_e32 v2, 16, v2
	v_cmp_le_i32_e32 vcc, s19, v2
	v_add_u32_e32 v3, s65, v3
	s_or_b64 s[52:53], vcc, s[52:53]
	v_add_u32_e32 v6, 0x100, v6
	s_andn2_b64 exec, exec, s[52:53]
	s_cbranch_execz .LBB24_35
.LBB24_28:                              ;   Parent Loop BB24_12 Depth=1
                                        ; =>  This Loop Header: Depth=2
                                        ;       Child Loop BB24_31 Depth 3
	s_and_saveexec_b64 s[54:55], s[10:11]
	s_cbranch_execz .LBB24_27
; %bb.29:                               ;   in Loop: Header=BB24_28 Depth=2
	s_mov_b64 s[56:57], 0
	v_mov_b32_e32 v7, v6
	v_mov_b32_e32 v8, v19
	s_branch .LBB24_31
.LBB24_30:                              ;   in Loop: Header=BB24_31 Depth=3
	v_ashrrev_i32_e32 v5, 31, v4
	v_lshlrev_b64 v[4:5], 4, v[4:5]
	v_mov_b32_e32 v9, s25
	v_add_co_u32_e32 v4, vcc, s24, v4
	v_addc_co_u32_e32 v5, vcc, v9, v5, vcc
	global_load_dwordx4 v[30:33], v[4:5], off
	v_add_u32_e32 v8, 4, v8
	v_cmp_le_i32_e32 vcc, s19, v8
	s_or_b64 s[56:57], vcc, s[56:57]
	s_waitcnt vmcnt(0)
	ds_write2_b64 v7, v[30:31], v[32:33] offset1:1
	v_add_u32_e32 v7, 0x440, v7
	s_andn2_b64 exec, exec, s[56:57]
	s_cbranch_execz .LBB24_27
.LBB24_31:                              ;   Parent Loop BB24_12 Depth=1
                                        ;     Parent Loop BB24_28 Depth=2
                                        ; =>    This Inner Loop Header: Depth=3
	s_and_b64 vcc, exec, s[48:49]
	s_cbranch_vccz .LBB24_33
; %bb.32:                               ;   in Loop: Header=BB24_31 Depth=3
	v_add_u32_e32 v4, s61, v8
	v_mad_u64_u32 v[4:5], s[58:59], v4, s19, v[2:3]
	s_cbranch_execnz .LBB24_30
	s_branch .LBB24_34
.LBB24_33:                              ;   in Loop: Header=BB24_31 Depth=3
                                        ; implicit-def: $vgpr4
.LBB24_34:                              ;   in Loop: Header=BB24_31 Depth=3
	v_add_u32_e32 v4, v3, v8
	s_branch .LBB24_30
.LBB24_35:                              ;   in Loop: Header=BB24_12 Depth=1
	s_or_b64 exec, exec, s[4:5]
	s_andn2_b64 vcc, exec, s[50:51]
	s_waitcnt lgkmcnt(0)
	s_cbranch_vccnz .LBB24_46
; %bb.36:                               ;   in Loop: Header=BB24_12 Depth=1
	s_mov_b32 s61, 0
	v_mov_b32_e32 v29, v25
	v_mov_b32_e32 v30, v24
	s_branch .LBB24_38
.LBB24_37:                              ;   in Loop: Header=BB24_38 Depth=2
	s_or_b64 exec, exec, s[52:53]
	s_add_i32 s61, s61, 1
	v_add_u32_e32 v30, 0x110, v30
	s_cmp_eq_u32 s61, s19
	v_add_u32_e32 v29, 0x120, v29
	s_waitcnt lgkmcnt(0)
	s_cbranch_scc1 .LBB24_46
.LBB24_38:                              ;   Parent Loop BB24_12 Depth=1
                                        ; =>  This Loop Header: Depth=2
                                        ;       Child Loop BB24_41 Depth 3
                                        ;         Child Loop BB24_45 Depth 4
	s_and_saveexec_b64 s[52:53], s[6:7]
	s_cbranch_execz .LBB24_37
; %bb.39:                               ;   in Loop: Header=BB24_38 Depth=2
	s_lshl_b32 s4, s61, 4
	s_mul_i32 s66, s61, 0x110
	s_add_i32 s4, s66, s4
	v_mov_b32_e32 v2, s4
	ds_read_b128 v[2:5], v2
	v_add_u32_e32 v31, s61, v20
	s_mov_b64 s[54:55], 0
	s_waitcnt lgkmcnt(0)
	v_mul_f64 v[6:7], v[4:5], v[4:5]
	v_fmac_f64_e32 v[6:7], v[2:3], v[2:3]
	v_div_scale_f64 v[8:9], s[4:5], v[6:7], v[6:7], 1.0
	v_rcp_f64_e32 v[16:17], v[8:9]
	v_div_scale_f64 v[32:33], vcc, 1.0, v[6:7], 1.0
	v_cmp_gt_i32_e64 s[4:5], s19, v31
	v_fma_f64 v[34:35], -v[8:9], v[16:17], 1.0
	v_fmac_f64_e32 v[16:17], v[16:17], v[34:35]
	v_fma_f64 v[34:35], -v[8:9], v[16:17], 1.0
	v_fmac_f64_e32 v[16:17], v[16:17], v[34:35]
	v_mul_f64 v[34:35], v[32:33], v[16:17]
	v_fma_f64 v[8:9], -v[8:9], v[34:35], v[32:33]
	v_div_fmas_f64 v[8:9], v[8:9], v[16:17], v[34:35]
	v_div_fixup_f64 v[16:17], v[8:9], v[6:7], 1.0
	v_mov_b32_e32 v32, v30
	v_mov_b32_e32 v33, v18
	s_branch .LBB24_41
.LBB24_40:                              ;   in Loop: Header=BB24_41 Depth=3
	s_or_b64 exec, exec, s[56:57]
	v_add_u32_e32 v33, 16, v33
	v_cmp_le_i32_e32 vcc, s19, v33
	s_or_b64 s[54:55], vcc, s[54:55]
	v_add_u32_e32 v32, 0x100, v32
	s_andn2_b64 exec, exec, s[54:55]
	s_cbranch_execz .LBB24_37
.LBB24_41:                              ;   Parent Loop BB24_12 Depth=1
                                        ;     Parent Loop BB24_38 Depth=2
                                        ; =>    This Loop Header: Depth=3
                                        ;         Child Loop BB24_45 Depth 4
	v_lshl_add_u32 v34, v33, 4, s66
	ds_read_b128 v[6:9], v34 offset:4352
	s_waitcnt lgkmcnt(0)
	v_mul_f64 v[36:37], v[4:5], v[8:9]
	v_mul_f64 v[38:39], v[4:5], -v[6:7]
	v_fmac_f64_e32 v[36:37], v[6:7], v[2:3]
	v_fmac_f64_e32 v[38:39], v[8:9], v[2:3]
	v_mul_f64 v[6:7], v[16:17], v[36:37]
	v_mul_f64 v[8:9], v[16:17], v[38:39]
	s_and_saveexec_b64 s[56:57], s[12:13]
	s_cbranch_execz .LBB24_43
; %bb.42:                               ;   in Loop: Header=BB24_41 Depth=3
	v_add_u32_e32 v34, 0x1100, v34
	ds_write_b128 v34, v[6:9]
.LBB24_43:                              ;   in Loop: Header=BB24_41 Depth=3
	s_or_b64 exec, exec, s[56:57]
	s_and_saveexec_b64 s[56:57], s[4:5]
	s_cbranch_execz .LBB24_40
; %bb.44:                               ;   in Loop: Header=BB24_41 Depth=3
	s_mov_b64 s[58:59], 0
	v_mov_b32_e32 v34, v29
	v_mov_b32_e32 v35, v32
	;; [unrolled: 1-line block ×3, first 2 shown]
.LBB24_45:                              ;   Parent Loop BB24_12 Depth=1
                                        ;     Parent Loop BB24_38 Depth=2
                                        ;       Parent Loop BB24_41 Depth=3
                                        ; =>      This Inner Loop Header: Depth=4
	ds_read_b128 v[38:41], v34
	ds_read_b128 v[42:45], v35
	v_add_u32_e32 v36, 4, v36
	v_cmp_le_i32_e32 vcc, s19, v36
	s_or_b64 s[58:59], vcc, s[58:59]
	v_add_u32_e32 v34, 0x440, v34
	s_waitcnt lgkmcnt(0)
	v_fma_f64 v[42:43], -v[6:7], v[38:39], v[42:43]
	v_fma_f64 v[38:39], -v[8:9], v[38:39], v[44:45]
	v_fmac_f64_e32 v[42:43], v[8:9], v[40:41]
	v_fma_f64 v[44:45], -v[6:7], v[40:41], v[38:39]
	ds_write_b128 v35, v[42:45]
	v_add_u32_e32 v35, 0x440, v35
	s_andn2_b64 exec, exec, s[58:59]
	s_cbranch_execnz .LBB24_45
	s_branch .LBB24_40
.LBB24_46:                              ;   in Loop: Header=BB24_12 Depth=1
	s_and_saveexec_b64 s[4:5], s[6:7]
	s_cbranch_execz .LBB24_56
; %bb.47:                               ;   in Loop: Header=BB24_12 Depth=1
	s_mul_i32 s61, s46, s19
	s_mov_b64 s[52:53], 0
	v_mov_b32_e32 v3, v23
	v_mov_b32_e32 v6, v13
	;; [unrolled: 1-line block ×3, first 2 shown]
	s_branch .LBB24_49
.LBB24_48:                              ;   in Loop: Header=BB24_49 Depth=2
	s_or_b64 exec, exec, s[54:55]
	v_add_u32_e32 v2, 16, v2
	v_cmp_le_i32_e32 vcc, s19, v2
	v_add_u32_e32 v6, s65, v6
	s_or_b64 s[52:53], vcc, s[52:53]
	v_add_u32_e32 v3, 0x100, v3
	s_andn2_b64 exec, exec, s[52:53]
	s_cbranch_execz .LBB24_56
.LBB24_49:                              ;   Parent Loop BB24_12 Depth=1
                                        ; =>  This Loop Header: Depth=2
                                        ;       Child Loop BB24_52 Depth 3
	s_and_saveexec_b64 s[54:55], s[10:11]
	s_cbranch_execz .LBB24_48
; %bb.50:                               ;   in Loop: Header=BB24_49 Depth=2
	s_mov_b64 s[56:57], 0
	v_mov_b32_e32 v7, v3
	v_mov_b32_e32 v8, v19
	s_branch .LBB24_52
.LBB24_51:                              ;   in Loop: Header=BB24_52 Depth=3
	v_ashrrev_i32_e32 v5, 31, v4
	v_lshlrev_b64 v[4:5], 4, v[4:5]
	ds_read2_b64 v[30:33], v7 offset1:1
	v_mov_b32_e32 v9, s25
	v_add_co_u32_e32 v4, vcc, s24, v4
	v_addc_co_u32_e32 v5, vcc, v9, v5, vcc
	v_add_u32_e32 v8, 4, v8
	v_cmp_le_i32_e32 vcc, s19, v8
	s_or_b64 s[56:57], vcc, s[56:57]
	v_add_u32_e32 v7, 0x440, v7
	s_waitcnt lgkmcnt(0)
	global_store_dwordx4 v[4:5], v[30:33], off
	s_andn2_b64 exec, exec, s[56:57]
	s_cbranch_execz .LBB24_48
.LBB24_52:                              ;   Parent Loop BB24_12 Depth=1
                                        ;     Parent Loop BB24_49 Depth=2
                                        ; =>    This Inner Loop Header: Depth=3
	s_and_b64 vcc, exec, s[48:49]
	s_cbranch_vccz .LBB24_54
; %bb.53:                               ;   in Loop: Header=BB24_52 Depth=3
	v_add_u32_e32 v4, s61, v8
	v_mad_u64_u32 v[4:5], s[58:59], v4, s19, v[2:3]
	s_cbranch_execnz .LBB24_51
	s_branch .LBB24_55
.LBB24_54:                              ;   in Loop: Header=BB24_52 Depth=3
                                        ; implicit-def: $vgpr4
.LBB24_55:                              ;   in Loop: Header=BB24_52 Depth=3
	v_add_u32_e32 v4, v6, v8
	s_branch .LBB24_51
.LBB24_56:                              ;   in Loop: Header=BB24_12 Depth=1
	s_or_b64 exec, exec, s[4:5]
	s_sub_i32 s66, s60, s18
	s_add_i32 s4, s47, 1
	s_cmp_ge_i32 s4, s66
	s_cbranch_scc1 .LBB24_11
; %bb.57:                               ;   in Loop: Header=BB24_12 Depth=1
	s_mul_i32 s5, s19, s4
	v_add_u32_e32 v2, s5, v18
	v_mul_lo_u32 v16, s19, v2
	s_branch .LBB24_61
.LBB24_58:                              ;   in Loop: Header=BB24_61 Depth=2
	s_or_b64 exec, exec, s[54:55]
.LBB24_59:                              ;   in Loop: Header=BB24_61 Depth=2
	s_or_b64 exec, exec, s[52:53]
.LBB24_60:                              ;   in Loop: Header=BB24_61 Depth=2
	s_add_i32 s4, s4, 1
	s_cmp_lt_i32 s4, s66
	v_add_u32_e32 v16, s64, v16
	s_waitcnt lgkmcnt(0)
	s_cbranch_scc0 .LBB24_11
.LBB24_61:                              ;   Parent Loop BB24_12 Depth=1
                                        ; =>  This Loop Header: Depth=2
                                        ;       Child Loop BB24_66 Depth 3
                                        ;       Child Loop BB24_75 Depth 3
                                        ;         Child Loop BB24_78 Depth 4
                                        ;       Child Loop BB24_84 Depth 3
                                        ;         Child Loop BB24_87 Depth 4
                                        ;           Child Loop BB24_88 Depth 5
	s_ashr_i32 s5, s4, 31
	s_lshl_b64 s[52:53], s[4:5], 2
	s_add_u32 s52, s22, s52
	s_addc_u32 s53, s23, s53
	global_load_dword v2, v27, s[52:53]
	v_mov_b32_e32 v3, s33
	s_and_saveexec_b64 s[52:53], s[14:15]
	s_cbranch_execz .LBB24_63
; %bb.62:                               ;   in Loop: Header=BB24_61 Depth=2
	global_load_dword v3, v[14:15], off
	s_waitcnt vmcnt(0)
	v_subrev_u32_e32 v3, s18, v3
.LBB24_63:                              ;   in Loop: Header=BB24_61 Depth=2
	s_or_b64 exec, exec, s[52:53]
	s_waitcnt vmcnt(0)
	v_subrev_u32_e32 v4, s18, v2
	v_cmp_lt_i32_e32 vcc, v3, v4
	v_mov_b32_e32 v5, v12
	s_and_saveexec_b64 s[52:53], vcc
	s_cbranch_execz .LBB24_69
; %bb.64:                               ;   in Loop: Header=BB24_61 Depth=2
	s_mov_b64 s[54:55], 0
	v_mov_b32_e32 v2, v12
	s_branch .LBB24_66
.LBB24_65:                              ;   in Loop: Header=BB24_66 Depth=3
	s_or_b64 exec, exec, s[56:57]
	v_cmp_ge_i32_e32 vcc, v3, v4
	s_or_b64 s[54:55], vcc, s[54:55]
	v_mov_b32_e32 v2, v5
	s_andn2_b64 exec, exec, s[54:55]
	s_cbranch_execz .LBB24_68
.LBB24_66:                              ;   Parent Loop BB24_12 Depth=1
                                        ;     Parent Loop BB24_61 Depth=2
                                        ; =>    This Inner Loop Header: Depth=3
	v_add_u32_e32 v5, 64, v2
	v_cmp_gt_i32_e32 vcc, s31, v5
	v_mov_b32_e32 v3, s33
	s_and_saveexec_b64 s[56:57], vcc
	s_cbranch_execz .LBB24_65
; %bb.67:                               ;   in Loop: Header=BB24_66 Depth=3
	v_ashrrev_i32_e32 v3, 31, v2
	v_lshlrev_b64 v[2:3], 2, v[2:3]
	v_mov_b32_e32 v6, s63
	v_add_co_u32_e32 v2, vcc, s62, v2
	v_addc_co_u32_e32 v3, vcc, v6, v3, vcc
	global_load_dword v2, v[2:3], off
	s_waitcnt vmcnt(0)
	v_subrev_u32_e32 v3, s18, v2
	s_branch .LBB24_65
.LBB24_68:                              ;   in Loop: Header=BB24_61 Depth=2
	s_or_b64 exec, exec, s[54:55]
.LBB24_69:                              ;   in Loop: Header=BB24_61 Depth=2
	s_or_b64 exec, exec, s[52:53]
	v_cmp_eq_u32_e32 vcc, v3, v4
	s_cbranch_vccz .LBB24_60
; %bb.70:                               ;   in Loop: Header=BB24_61 Depth=2
	s_ff1_i32_b64 s5, vcc
	v_and_or_b32 v2, v28, 64, s5
	v_lshlrev_b32_e32 v2, 2, v2
	ds_bpermute_b32 v3, v2, v5
	s_and_saveexec_b64 s[52:53], s[8:9]
	s_xor_b64 s[52:53], exec, s[52:53]
	s_cbranch_execz .LBB24_72
; %bb.71:                               ;   in Loop: Header=BB24_61 Depth=2
	s_waitcnt lgkmcnt(0)
                                        ; implicit-def: $vgpr3
.LBB24_72:                              ;   in Loop: Header=BB24_61 Depth=2
	s_andn2_saveexec_b64 s[52:53], s[52:53]
	s_cbranch_execz .LBB24_59
; %bb.73:                               ;   in Loop: Header=BB24_61 Depth=2
	s_mul_i32 s5, s4, s19
	s_mov_b64 s[54:55], 0
	v_mov_b32_e32 v6, v22
	v_mov_b32_e32 v7, v16
	;; [unrolled: 1-line block ×3, first 2 shown]
	s_branch .LBB24_75
.LBB24_74:                              ;   in Loop: Header=BB24_75 Depth=3
	s_or_b64 exec, exec, s[56:57]
	v_add_u32_e32 v2, 16, v2
	v_cmp_le_i32_e32 vcc, s19, v2
	v_add_u32_e32 v7, s65, v7
	s_or_b64 s[54:55], vcc, s[54:55]
	v_add_u32_e32 v6, 0x100, v6
	s_andn2_b64 exec, exec, s[54:55]
	s_cbranch_execz .LBB24_82
.LBB24_75:                              ;   Parent Loop BB24_12 Depth=1
                                        ;     Parent Loop BB24_61 Depth=2
                                        ; =>    This Loop Header: Depth=3
                                        ;         Child Loop BB24_78 Depth 4
	s_and_saveexec_b64 s[56:57], s[10:11]
	s_cbranch_execz .LBB24_74
; %bb.76:                               ;   in Loop: Header=BB24_75 Depth=3
	s_mov_b64 s[58:59], 0
	v_mov_b32_e32 v8, v6
	v_mov_b32_e32 v9, v19
	s_branch .LBB24_78
.LBB24_77:                              ;   in Loop: Header=BB24_78 Depth=4
	v_ashrrev_i32_e32 v5, 31, v4
	v_lshlrev_b64 v[4:5], 4, v[4:5]
	v_mov_b32_e32 v17, s25
	v_add_co_u32_e32 v4, vcc, s24, v4
	v_addc_co_u32_e32 v5, vcc, v17, v5, vcc
	global_load_dwordx4 v[30:33], v[4:5], off
	v_add_u32_e32 v9, 4, v9
	v_cmp_le_i32_e32 vcc, s19, v9
	s_or_b64 s[58:59], vcc, s[58:59]
	s_waitcnt vmcnt(0)
	ds_write2_b64 v8, v[30:31], v[32:33] offset1:1
	v_add_u32_e32 v8, 0x440, v8
	s_andn2_b64 exec, exec, s[58:59]
	s_cbranch_execz .LBB24_74
.LBB24_78:                              ;   Parent Loop BB24_12 Depth=1
                                        ;     Parent Loop BB24_61 Depth=2
                                        ;       Parent Loop BB24_75 Depth=3
                                        ; =>      This Inner Loop Header: Depth=4
	s_and_b64 vcc, exec, s[48:49]
	s_cbranch_vccz .LBB24_80
; %bb.79:                               ;   in Loop: Header=BB24_78 Depth=4
	v_add_u32_e32 v4, s5, v9
	s_waitcnt lgkmcnt(0)
	v_mad_u64_u32 v[4:5], s[60:61], v4, s19, v[2:3]
	s_cbranch_execnz .LBB24_77
	s_branch .LBB24_81
.LBB24_80:                              ;   in Loop: Header=BB24_78 Depth=4
                                        ; implicit-def: $vgpr4
.LBB24_81:                              ;   in Loop: Header=BB24_78 Depth=4
	v_add_u32_e32 v4, v7, v9
	s_branch .LBB24_77
.LBB24_82:                              ;   in Loop: Header=BB24_61 Depth=2
	s_or_b64 exec, exec, s[54:55]
	s_waitcnt lgkmcnt(0)
	v_mul_lo_u32 v3, v3, s19
	s_mov_b64 s[54:55], 0
	v_mov_b32_e32 v17, v26
	v_mov_b32_e32 v2, v18
	s_branch .LBB24_84
.LBB24_83:                              ;   in Loop: Header=BB24_84 Depth=3
	s_or_b64 exec, exec, s[56:57]
	v_add_u32_e32 v2, 16, v2
	v_cmp_le_i32_e32 vcc, s19, v2
	s_or_b64 s[54:55], vcc, s[54:55]
	v_add_u32_e32 v17, 0x100, v17
	s_andn2_b64 exec, exec, s[54:55]
	s_cbranch_execz .LBB24_58
.LBB24_84:                              ;   Parent Loop BB24_12 Depth=1
                                        ;     Parent Loop BB24_61 Depth=2
                                        ; =>    This Loop Header: Depth=3
                                        ;         Child Loop BB24_87 Depth 4
                                        ;           Child Loop BB24_88 Depth 5
	s_and_saveexec_b64 s[56:57], s[10:11]
	s_cbranch_execz .LBB24_83
; %bb.85:                               ;   in Loop: Header=BB24_84 Depth=3
	v_add_u32_e32 v4, v2, v3
	v_mul_lo_u32 v29, v4, s19
	s_mov_b64 s[58:59], 0
	v_mov_b32_e32 v30, v21
	v_mov_b32_e32 v31, v19
	s_branch .LBB24_87
.LBB24_86:                              ;   in Loop: Header=BB24_87 Depth=4
	v_ashrrev_i32_e32 v9, 31, v8
	v_lshlrev_b64 v[8:9], 4, v[8:9]
	v_mov_b32_e32 v32, s25
	v_add_co_u32_e32 v8, vcc, s24, v8
	v_addc_co_u32_e32 v9, vcc, v32, v9, vcc
	global_load_dwordx4 v[32:35], v[8:9], off
	v_add_u32_e32 v31, 4, v31
	v_cmp_le_i32_e32 vcc, s19, v31
	s_or_b64 s[58:59], vcc, s[58:59]
	v_add_u32_e32 v30, 0x440, v30
	s_waitcnt vmcnt(0)
	v_add_f64 v[4:5], v[32:33], -v[4:5]
	v_add_f64 v[6:7], v[34:35], -v[6:7]
	global_store_dwordx4 v[8:9], v[4:7], off
	s_andn2_b64 exec, exec, s[58:59]
	s_cbranch_execz .LBB24_83
.LBB24_87:                              ;   Parent Loop BB24_12 Depth=1
                                        ;     Parent Loop BB24_61 Depth=2
                                        ;       Parent Loop BB24_84 Depth=3
                                        ; =>      This Loop Header: Depth=4
                                        ;           Child Loop BB24_88 Depth 5
	v_pk_mov_b32 v[4:5], 0, 0
	v_mov_b32_e32 v8, v17
	v_mov_b32_e32 v9, v30
	s_mov_b32 s5, s19
	v_pk_mov_b32 v[6:7], v[4:5], v[4:5] op_sel:[0,1]
.LBB24_88:                              ;   Parent Loop BB24_12 Depth=1
                                        ;     Parent Loop BB24_61 Depth=2
                                        ;       Parent Loop BB24_84 Depth=3
                                        ;         Parent Loop BB24_87 Depth=4
                                        ; =>        This Inner Loop Header: Depth=5
	ds_read_b128 v[32:35], v8
	ds_read_b128 v[36:39], v9
	s_add_i32 s5, s5, -1
	v_add_u32_e32 v9, 16, v9
	v_add_u32_e32 v8, 0x110, v8
	s_cmp_eq_u32 s5, 0
	s_waitcnt lgkmcnt(0)
	v_fmac_f64_e32 v[4:5], v[32:33], v[36:37]
	v_fmac_f64_e32 v[6:7], v[34:35], v[36:37]
	v_fma_f64 v[4:5], -v[34:35], v[38:39], v[4:5]
	v_fmac_f64_e32 v[6:7], v[32:33], v[38:39]
	s_cbranch_scc0 .LBB24_88
; %bb.89:                               ;   in Loop: Header=BB24_87 Depth=4
	s_and_b64 vcc, exec, s[48:49]
	s_cbranch_vccz .LBB24_91
; %bb.90:                               ;   in Loop: Header=BB24_87 Depth=4
	v_add_u32_e32 v8, v31, v3
	v_mad_u64_u32 v[8:9], s[60:61], v8, s19, v[2:3]
	s_cbranch_execnz .LBB24_86
	s_branch .LBB24_92
.LBB24_91:                              ;   in Loop: Header=BB24_87 Depth=4
                                        ; implicit-def: $vgpr8
.LBB24_92:                              ;   in Loop: Header=BB24_87 Depth=4
	v_add_u32_e32 v8, v31, v29
	s_branch .LBB24_86
.LBB24_93:
	s_ashr_i32 s41, s40, 31
	s_lshl_b64 s[4:5], s[40:41], 2
	s_add_u32 s4, s22, s4
	s_addc_u32 s5, s23, s5
	v_mov_b32_e32 v2, 0
	global_load_dword v2, v2, s[4:5]
	s_waitcnt vmcnt(0)
	v_subrev_u32_e32 v2, s18, v2
	v_cmp_ne_u32_e32 vcc, s30, v2
	s_cbranch_vccnz .LBB24_105
; %bb.94:
	v_and_b32_e32 v6, 0x3ff, v0
	v_cmp_gt_i32_e64 s[6:7], s19, v6
	v_lshlrev_b32_e32 v7, 4, v6
	s_and_saveexec_b64 s[8:9], s[6:7]
	s_cbranch_execz .LBB24_106
; %bb.95:
	s_mul_i32 s26, s40, s19
	v_add_u32_e32 v2, s26, v6
	v_bfe_u32 v3, v0, 10, 10
	s_cmp_lg_u32 s42, 0
	v_mul_lo_u32 v8, s19, v2
	v_lshlrev_b32_e32 v2, 4, v6
	s_movk_i32 s12, 0x110
	v_cmp_gt_u32_e64 s[4:5], s19, v3
	s_cselect_b64 s[10:11], -1, 0
	s_lshl_b32 s27, s19, 4
	v_mad_u32_u24 v9, v3, s12, v2
	s_mov_b64 s[12:13], 0
	v_mov_b32_e32 v2, v6
	s_branch .LBB24_97
.LBB24_96:                              ;   in Loop: Header=BB24_97 Depth=1
	s_or_b64 exec, exec, s[14:15]
	v_add_u32_e32 v2, 16, v2
	v_cmp_le_i32_e32 vcc, s19, v2
	v_add_u32_e32 v8, s27, v8
	s_or_b64 s[12:13], vcc, s[12:13]
	v_add_u32_e32 v9, 0x100, v9
	s_andn2_b64 exec, exec, s[12:13]
	s_cbranch_execz .LBB24_106
.LBB24_97:                              ; =>This Loop Header: Depth=1
                                        ;     Child Loop BB24_100 Depth 2
	s_and_saveexec_b64 s[14:15], s[4:5]
	s_cbranch_execz .LBB24_96
; %bb.98:                               ;   in Loop: Header=BB24_97 Depth=1
	s_mov_b64 s[20:21], 0
	v_mov_b32_e32 v12, v9
	v_mov_b32_e32 v13, v3
	s_branch .LBB24_100
.LBB24_99:                              ;   in Loop: Header=BB24_100 Depth=2
	v_ashrrev_i32_e32 v5, 31, v4
	v_lshlrev_b64 v[4:5], 4, v[4:5]
	v_mov_b32_e32 v14, s25
	v_add_co_u32_e32 v4, vcc, s24, v4
	v_addc_co_u32_e32 v5, vcc, v14, v5, vcc
	global_load_dwordx4 v[14:17], v[4:5], off
	v_add_u32_e32 v13, 4, v13
	v_cmp_le_i32_e32 vcc, s19, v13
	s_or_b64 s[20:21], vcc, s[20:21]
	s_waitcnt vmcnt(0)
	ds_write2_b64 v12, v[14:15], v[16:17] offset1:1
	v_add_u32_e32 v12, 0x440, v12
	s_andn2_b64 exec, exec, s[20:21]
	s_cbranch_execz .LBB24_96
.LBB24_100:                             ;   Parent Loop BB24_97 Depth=1
                                        ; =>  This Inner Loop Header: Depth=2
	s_and_b64 vcc, exec, s[10:11]
	s_cbranch_vccz .LBB24_102
; %bb.101:                              ;   in Loop: Header=BB24_100 Depth=2
	v_add_u32_e32 v4, s26, v13
	v_mad_u64_u32 v[4:5], s[22:23], v4, s19, v[2:3]
	s_cbranch_execnz .LBB24_99
	s_branch .LBB24_103
.LBB24_102:                             ;   in Loop: Header=BB24_100 Depth=2
                                        ; implicit-def: $vgpr4
.LBB24_103:                             ;   in Loop: Header=BB24_100 Depth=2
	v_add_u32_e32 v4, v8, v13
	s_branch .LBB24_99
.LBB24_104:
	s_mov_b64 s[14:15], -1
	s_branch .LBB24_177
.LBB24_105:
	s_mov_b64 s[14:15], s[44:45]
	s_add_i32 s33, s40, 1
	s_cmp_ge_i32 s33, s31
	s_cbranch_scc0 .LBB24_145
	s_branch .LBB24_177
.LBB24_106:
	s_or_b64 exec, exec, s[8:9]
	s_cmp_lt_i32 s19, 1
	s_waitcnt lgkmcnt(0)
	s_cbranch_scc1 .LBB24_134
; %bb.107:
	s_cmp_eq_u64 s[36:37], 8
	v_cvt_f64_f32_e32 v[2:3], v1
	s_cselect_b64 vcc, -1, 0
	v_bfe_u32 v1, v0, 10, 10
	v_cndmask_b32_e32 v8, v2, v10, vcc
	v_or_b32_e32 v2, v6, v1
	s_movk_i32 s33, 0x110
	s_mov_b32 s22, 0
	v_cndmask_b32_e32 v9, v3, v11, vcc
	v_cmp_eq_u32_e64 s[8:9], 0, v2
	v_cmp_eq_u32_e64 s[10:11], 0, v1
	v_mad_u32_u24 v10, v1, s33, s33
	s_mov_b64 s[20:21], 0
	v_mov_b32_e32 v21, 0
	s_brev_b32 s23, 8
	v_mov_b32_e32 v11, 0x260
	v_mov_b32_e32 v18, 0
	;; [unrolled: 1-line block ×3, first 2 shown]
	s_movk_i32 s41, 0x120
	v_mov_b32_e32 v20, 0xffffff80
                                        ; implicit-def: $sgpr14_sgpr15
	s_branch .LBB24_109
.LBB24_108:                             ;   in Loop: Header=BB24_109 Depth=1
	s_or_b64 exec, exec, s[12:13]
	v_cmp_eq_u32_e32 vcc, s19, v14
	s_or_b64 s[20:21], vcc, s[20:21]
	s_andn2_b64 s[4:5], s[14:15], exec
	s_and_b64 s[12:13], s[44:45], exec
	s_or_b64 s[14:15], s[4:5], s[12:13]
	v_mov_b32_e32 v21, v14
	s_andn2_b64 exec, exec, s[20:21]
	s_cbranch_execz .LBB24_133
.LBB24_109:                             ; =>This Loop Header: Depth=1
                                        ;     Child Loop BB24_126 Depth 2
                                        ;       Child Loop BB24_130 Depth 3
	v_mul_lo_u32 v22, v21, s33
	v_lshl_add_u32 v23, v21, 4, v22
	ds_read2_b64 v[2:5], v23 offset1:1
	s_mov_b64 s[26:27], -1
	s_and_b64 vcc, exec, s[16:17]
	s_mov_b64 s[12:13], 0
	s_waitcnt lgkmcnt(0)
	buffer_store_dword v5, off, s[0:3], 0 offset:28
	buffer_store_dword v4, off, s[0:3], 0 offset:24
	;; [unrolled: 1-line block ×4, first 2 shown]
	s_cbranch_vccz .LBB24_113
; %bb.110:                              ;   in Loop: Header=BB24_109 Depth=1
	s_mov_b64 s[4:5], 0
	s_and_b64 vcc, exec, s[26:27]
	s_cbranch_vccnz .LBB24_122
.LBB24_111:                             ;   in Loop: Header=BB24_109 Depth=1
                                        ; implicit-def: $vgpr14
	s_and_saveexec_b64 s[26:27], s[12:13]
	s_xor_b64 s[26:27], exec, s[26:27]
	s_cbranch_execnz .LBB24_123
.LBB24_112:                             ;   in Loop: Header=BB24_109 Depth=1
	s_or_b64 exec, exec, s[26:27]
	s_and_saveexec_b64 s[12:13], s[4:5]
	s_cbranch_execz .LBB24_108
	s_branch .LBB24_132
.LBB24_113:                             ;   in Loop: Header=BB24_109 Depth=1
	v_xor_b32_e32 v12, 0x80000000, v3
	v_cmp_gt_f64_e32 vcc, 0, v[2:3]
	v_cndmask_b32_e32 v13, v3, v12, vcc
	v_cndmask_b32_e32 v12, v2, v2, vcc
	v_xor_b32_e32 v14, 0x80000000, v5
	v_cmp_gt_f64_e32 vcc, 0, v[4:5]
	v_cndmask_b32_e32 v15, v5, v14, vcc
	v_cndmask_b32_e32 v14, v4, v4, vcc
	v_cmp_ngt_f64_e32 vcc, v[12:13], v[14:15]
                                        ; implicit-def: $vgpr16_vgpr17
	s_and_saveexec_b64 s[4:5], vcc
	s_xor_b64 s[4:5], exec, s[4:5]
	s_cbranch_execz .LBB24_117
; %bb.114:                              ;   in Loop: Header=BB24_109 Depth=1
	v_cmp_neq_f64_e32 vcc, 0, v[4:5]
	v_pk_mov_b32 v[16:17], 0, 0
	s_and_saveexec_b64 s[12:13], vcc
	s_cbranch_execz .LBB24_116
; %bb.115:                              ;   in Loop: Header=BB24_109 Depth=1
	v_div_scale_f64 v[16:17], s[26:27], v[14:15], v[14:15], v[12:13]
	v_rcp_f64_e32 v[24:25], v[16:17]
	v_div_scale_f64 v[26:27], vcc, v[12:13], v[14:15], v[12:13]
	v_fma_f64 v[28:29], -v[16:17], v[24:25], 1.0
	v_fmac_f64_e32 v[24:25], v[24:25], v[28:29]
	v_fma_f64 v[28:29], -v[16:17], v[24:25], 1.0
	v_fmac_f64_e32 v[24:25], v[24:25], v[28:29]
	v_mul_f64 v[28:29], v[26:27], v[24:25]
	v_fma_f64 v[16:17], -v[16:17], v[28:29], v[26:27]
	v_div_fmas_f64 v[16:17], v[16:17], v[24:25], v[28:29]
	v_div_fixup_f64 v[12:13], v[16:17], v[14:15], v[12:13]
	v_fma_f64 v[12:13], v[12:13], v[12:13], 1.0
	v_cmp_gt_f64_e32 vcc, s[22:23], v[12:13]
	v_cndmask_b32_e64 v16, 0, 1, vcc
	v_lshlrev_b32_e32 v16, 8, v16
	v_ldexp_f64 v[12:13], v[12:13], v16
	v_rsq_f64_e32 v[16:17], v[12:13]
	v_mul_f64 v[24:25], v[12:13], v[16:17]
	v_mul_f64 v[16:17], v[16:17], 0.5
	v_fma_f64 v[26:27], -v[16:17], v[24:25], 0.5
	v_fmac_f64_e32 v[24:25], v[24:25], v[26:27]
	v_fma_f64 v[28:29], -v[24:25], v[24:25], v[12:13]
	v_fmac_f64_e32 v[16:17], v[16:17], v[26:27]
	v_fmac_f64_e32 v[24:25], v[28:29], v[16:17]
	v_fma_f64 v[26:27], -v[24:25], v[24:25], v[12:13]
	v_fmac_f64_e32 v[24:25], v[26:27], v[16:17]
	v_cndmask_b32_e32 v16, 0, v20, vcc
	v_ldexp_f64 v[16:17], v[24:25], v16
	v_cmp_class_f64_e32 vcc, v[12:13], v11
	v_cndmask_b32_e32 v13, v17, v13, vcc
	v_cndmask_b32_e32 v12, v16, v12, vcc
	v_mul_f64 v[16:17], v[14:15], v[12:13]
.LBB24_116:                             ;   in Loop: Header=BB24_109 Depth=1
	s_or_b64 exec, exec, s[12:13]
                                        ; implicit-def: $vgpr12_vgpr13
                                        ; implicit-def: $vgpr14_vgpr15
.LBB24_117:                             ;   in Loop: Header=BB24_109 Depth=1
	s_andn2_saveexec_b64 s[4:5], s[4:5]
	s_cbranch_execz .LBB24_119
; %bb.118:                              ;   in Loop: Header=BB24_109 Depth=1
	v_div_scale_f64 v[16:17], s[12:13], v[12:13], v[12:13], v[14:15]
	v_rcp_f64_e32 v[24:25], v[16:17]
	v_div_scale_f64 v[26:27], vcc, v[14:15], v[12:13], v[14:15]
	v_fma_f64 v[28:29], -v[16:17], v[24:25], 1.0
	v_fmac_f64_e32 v[24:25], v[24:25], v[28:29]
	v_fma_f64 v[28:29], -v[16:17], v[24:25], 1.0
	v_fmac_f64_e32 v[24:25], v[24:25], v[28:29]
	v_mul_f64 v[28:29], v[26:27], v[24:25]
	v_fma_f64 v[16:17], -v[16:17], v[28:29], v[26:27]
	v_div_fmas_f64 v[16:17], v[16:17], v[24:25], v[28:29]
	v_div_fixup_f64 v[14:15], v[16:17], v[12:13], v[14:15]
	v_fma_f64 v[14:15], v[14:15], v[14:15], 1.0
	v_cmp_gt_f64_e32 vcc, s[22:23], v[14:15]
	v_cndmask_b32_e64 v16, 0, 1, vcc
	v_lshlrev_b32_e32 v16, 8, v16
	v_ldexp_f64 v[14:15], v[14:15], v16
	v_rsq_f64_e32 v[16:17], v[14:15]
	v_mul_f64 v[24:25], v[14:15], v[16:17]
	v_mul_f64 v[16:17], v[16:17], 0.5
	v_fma_f64 v[26:27], -v[16:17], v[24:25], 0.5
	v_fmac_f64_e32 v[24:25], v[24:25], v[26:27]
	v_fma_f64 v[28:29], -v[24:25], v[24:25], v[14:15]
	v_fmac_f64_e32 v[16:17], v[16:17], v[26:27]
	v_fmac_f64_e32 v[24:25], v[28:29], v[16:17]
	v_fma_f64 v[26:27], -v[24:25], v[24:25], v[14:15]
	v_fmac_f64_e32 v[24:25], v[26:27], v[16:17]
	v_cndmask_b32_e32 v16, 0, v20, vcc
	v_ldexp_f64 v[16:17], v[24:25], v16
	v_cmp_class_f64_e32 vcc, v[14:15], v11
	v_cndmask_b32_e32 v15, v17, v15, vcc
	v_cndmask_b32_e32 v14, v16, v14, vcc
	v_mul_f64 v[16:17], v[12:13], v[14:15]
.LBB24_119:                             ;   in Loop: Header=BB24_109 Depth=1
	s_or_b64 exec, exec, s[4:5]
	v_cmp_le_f64_e32 vcc, v[16:17], v[8:9]
	v_cndmask_b32_e32 v12, v19, v18, vcc
	buffer_load_dword v13, v12, s[0:3], 0 offen
	buffer_load_dword v14, v12, s[0:3], 0 offen offset:4
	buffer_load_dword v15, v12, s[0:3], 0 offen offset:8
	;; [unrolled: 1-line block ×3, first 2 shown]
	s_waitcnt vmcnt(3)
	buffer_store_dword v13, off, s[0:3], 0 offset:16
	s_waitcnt vmcnt(3)
	buffer_store_dword v14, off, s[0:3], 0 offset:20
	;; [unrolled: 2-line block ×4, first 2 shown]
	s_and_saveexec_b64 s[4:5], s[8:9]
	s_cbranch_execz .LBB24_121
; %bb.120:                              ;   in Loop: Header=BB24_109 Depth=1
	buffer_load_dword v12, off, s[0:3], 0 offset:16
	buffer_load_dword v13, off, s[0:3], 0 offset:20
	;; [unrolled: 1-line block ×4, first 2 shown]
	s_waitcnt vmcnt(0)
	ds_write2_b64 v23, v[12:13], v[14:15] offset1:1
.LBB24_121:                             ;   in Loop: Header=BB24_109 Depth=1
	s_or_b64 exec, exec, s[4:5]
	s_mov_b64 s[12:13], -1
	s_mov_b64 s[4:5], 0
	s_branch .LBB24_111
.LBB24_122:                             ;   in Loop: Header=BB24_109 Depth=1
	v_cmp_neq_f64_e32 vcc, 0, v[2:3]
	v_cmp_neq_f64_e64 s[4:5], 0, v[4:5]
	s_or_b64 s[26:27], vcc, s[4:5]
	s_andn2_b64 s[12:13], s[12:13], exec
	s_and_b64 s[26:27], s[26:27], exec
	s_mov_b64 s[4:5], -1
	s_or_b64 s[12:13], s[12:13], s[26:27]
                                        ; implicit-def: $vgpr14
	s_and_saveexec_b64 s[26:27], s[12:13]
	s_xor_b64 s[26:27], exec, s[26:27]
	s_cbranch_execz .LBB24_112
.LBB24_123:                             ;   in Loop: Header=BB24_109 Depth=1
	v_add_u32_e32 v14, 1, v21
	v_add_u32_e32 v15, v14, v6
	v_cmp_gt_i32_e32 vcc, s19, v15
	s_and_saveexec_b64 s[36:37], vcc
	s_cbranch_execz .LBB24_131
; %bb.124:                              ;   in Loop: Header=BB24_109 Depth=1
	v_add_u32_e32 v16, v14, v1
	v_mad_u64_u32 v[12:13], s[46:47], v21, s41, v[10:11]
	v_cmp_gt_i32_e64 s[12:13], s19, v16
	s_mov_b64 s[46:47], 0
	v_mov_b32_e32 v13, v7
	s_branch .LBB24_126
.LBB24_125:                             ;   in Loop: Header=BB24_126 Depth=2
	s_or_b64 exec, exec, s[48:49]
	v_add_u32_e32 v15, 16, v15
	v_cmp_le_i32_e32 vcc, s19, v15
	s_or_b64 s[46:47], vcc, s[46:47]
	v_add_u32_e32 v13, 0x100, v13
	s_andn2_b64 exec, exec, s[46:47]
	s_cbranch_execz .LBB24_131
.LBB24_126:                             ;   Parent Loop BB24_109 Depth=1
                                        ; =>  This Loop Header: Depth=2
                                        ;       Child Loop BB24_130 Depth 3
	buffer_load_dword v24, off, s[0:3], 0 offset:24
	buffer_load_dword v25, off, s[0:3], 0 offset:28
	;; [unrolled: 1-line block ×4, first 2 shown]
	v_lshl_add_u32 v17, v15, 4, v22
	ds_read_b128 v[2:5], v17
	s_waitcnt vmcnt(2) lgkmcnt(0)
	v_mul_f64 v[28:29], v[24:25], v[24:25]
	v_mul_f64 v[30:31], v[4:5], v[24:25]
	s_waitcnt vmcnt(0)
	v_fmac_f64_e32 v[28:29], v[26:27], v[26:27]
	v_mul_f64 v[24:25], v[24:25], -v[2:3]
	v_fmac_f64_e32 v[30:31], v[2:3], v[26:27]
	v_div_scale_f64 v[2:3], s[48:49], v[28:29], v[28:29], 1.0
	v_rcp_f64_e32 v[32:33], v[2:3]
	v_fmac_f64_e32 v[24:25], v[4:5], v[26:27]
	v_div_scale_f64 v[4:5], vcc, 1.0, v[28:29], 1.0
	v_fma_f64 v[26:27], -v[2:3], v[32:33], 1.0
	v_fmac_f64_e32 v[32:33], v[32:33], v[26:27]
	v_fma_f64 v[26:27], -v[2:3], v[32:33], 1.0
	v_fmac_f64_e32 v[32:33], v[32:33], v[26:27]
	v_mul_f64 v[26:27], v[4:5], v[32:33]
	v_fma_f64 v[2:3], -v[2:3], v[26:27], v[4:5]
	v_div_fmas_f64 v[2:3], v[2:3], v[32:33], v[26:27]
	v_div_fixup_f64 v[4:5], v[2:3], v[28:29], 1.0
	v_mul_f64 v[2:3], v[30:31], v[4:5]
	v_mul_f64 v[4:5], v[24:25], v[4:5]
	s_and_saveexec_b64 s[48:49], s[10:11]
	s_cbranch_execz .LBB24_128
; %bb.127:                              ;   in Loop: Header=BB24_126 Depth=2
	ds_write_b128 v17, v[2:5]
.LBB24_128:                             ;   in Loop: Header=BB24_126 Depth=2
	s_or_b64 exec, exec, s[48:49]
	s_and_saveexec_b64 s[48:49], s[12:13]
	s_cbranch_execz .LBB24_125
; %bb.129:                              ;   in Loop: Header=BB24_126 Depth=2
	s_mov_b64 s[50:51], 0
	v_mov_b32_e32 v17, v12
	v_mov_b32_e32 v23, v16
.LBB24_130:                             ;   Parent Loop BB24_109 Depth=1
                                        ;     Parent Loop BB24_126 Depth=2
                                        ; =>    This Inner Loop Header: Depth=3
	v_add_u32_e32 v32, v17, v13
	ds_read_b128 v[24:27], v17
	ds_read_b128 v[28:31], v32 offset:16
	v_add_u32_e32 v23, 4, v23
	v_cmp_le_i32_e32 vcc, s19, v23
	v_add_u32_e32 v17, 0x440, v17
	s_or_b64 s[50:51], vcc, s[50:51]
	s_waitcnt lgkmcnt(0)
	v_fma_f64 v[28:29], -v[2:3], v[24:25], v[28:29]
	v_fma_f64 v[24:25], -v[4:5], v[24:25], v[30:31]
	v_fmac_f64_e32 v[28:29], v[4:5], v[26:27]
	v_fma_f64 v[30:31], -v[2:3], v[26:27], v[24:25]
	ds_write_b128 v32, v[28:31] offset:16
	s_andn2_b64 exec, exec, s[50:51]
	s_cbranch_execnz .LBB24_130
	s_branch .LBB24_125
.LBB24_131:                             ;   in Loop: Header=BB24_109 Depth=1
	s_or_b64 exec, exec, s[36:37]
	s_and_b64 s[44:45], s[44:45], exec
	s_andn2_b64 s[4:5], s[4:5], exec
	s_or_b64 exec, exec, s[26:27]
	s_and_saveexec_b64 s[12:13], s[4:5]
	s_cbranch_execz .LBB24_108
.LBB24_132:                             ;   in Loop: Header=BB24_109 Depth=1
	v_add_u32_e32 v14, 1, v21
	s_or_b64 s[44:45], s[44:45], exec
	s_branch .LBB24_108
.LBB24_133:
	s_or_b64 exec, exec, s[20:21]
	s_waitcnt lgkmcnt(0)
	s_and_saveexec_b64 s[8:9], s[6:7]
	s_cbranch_execnz .LBB24_135
	s_branch .LBB24_144
.LBB24_134:
	s_mov_b64 s[14:15], s[44:45]
	s_and_saveexec_b64 s[8:9], s[6:7]
	s_cbranch_execz .LBB24_144
.LBB24_135:
	s_mul_i32 s22, s40, s19
	v_bfe_u32 v1, v0, 10, 10
	s_cmp_lg_u32 s42, 0
	v_add_u32_e32 v2, s22, v6
	s_movk_i32 s10, 0x110
	v_cmp_gt_u32_e64 s[4:5], s19, v1
	s_cselect_b64 s[6:7], -1, 0
	v_mul_lo_u32 v4, s19, v2
	s_lshl_b32 s23, s19, 4
	v_mad_u32_u24 v5, v1, s10, v7
	s_mov_b64 s[10:11], 0
	s_branch .LBB24_137
.LBB24_136:                             ;   in Loop: Header=BB24_137 Depth=1
	s_or_b64 exec, exec, s[12:13]
	v_add_u32_e32 v6, 16, v6
	v_cmp_le_i32_e32 vcc, s19, v6
	v_add_u32_e32 v4, s23, v4
	s_or_b64 s[10:11], vcc, s[10:11]
	v_add_u32_e32 v5, 0x100, v5
	s_andn2_b64 exec, exec, s[10:11]
	s_cbranch_execz .LBB24_144
.LBB24_137:                             ; =>This Loop Header: Depth=1
                                        ;     Child Loop BB24_140 Depth 2
	s_and_saveexec_b64 s[12:13], s[4:5]
	s_cbranch_execz .LBB24_136
; %bb.138:                              ;   in Loop: Header=BB24_137 Depth=1
	s_mov_b64 s[16:17], 0
	v_mov_b32_e32 v7, v5
	v_mov_b32_e32 v8, v1
	s_branch .LBB24_140
.LBB24_139:                             ;   in Loop: Header=BB24_140 Depth=2
	v_ashrrev_i32_e32 v3, 31, v2
	v_lshlrev_b64 v[2:3], 4, v[2:3]
	ds_read2_b64 v[10:13], v7 offset1:1
	v_mov_b32_e32 v9, s25
	v_add_co_u32_e32 v2, vcc, s24, v2
	v_addc_co_u32_e32 v3, vcc, v9, v3, vcc
	v_add_u32_e32 v8, 4, v8
	v_cmp_le_i32_e32 vcc, s19, v8
	s_or_b64 s[16:17], vcc, s[16:17]
	v_add_u32_e32 v7, 0x440, v7
	s_waitcnt lgkmcnt(0)
	global_store_dwordx4 v[2:3], v[10:13], off
	s_andn2_b64 exec, exec, s[16:17]
	s_cbranch_execz .LBB24_136
.LBB24_140:                             ;   Parent Loop BB24_137 Depth=1
                                        ; =>  This Inner Loop Header: Depth=2
	s_and_b64 vcc, exec, s[6:7]
	s_cbranch_vccz .LBB24_142
; %bb.141:                              ;   in Loop: Header=BB24_140 Depth=2
	v_add_u32_e32 v2, s22, v8
	v_mad_u64_u32 v[2:3], s[20:21], v2, s19, v[6:7]
	s_cbranch_execnz .LBB24_139
	s_branch .LBB24_143
.LBB24_142:                             ;   in Loop: Header=BB24_140 Depth=2
                                        ; implicit-def: $vgpr2
.LBB24_143:                             ;   in Loop: Header=BB24_140 Depth=2
	v_add_u32_e32 v2, v4, v8
	s_branch .LBB24_139
.LBB24_144:
	s_or_b64 exec, exec, s[8:9]
	s_add_i32 s33, s40, 1
	s_cmp_ge_i32 s33, s31
	s_cbranch_scc1 .LBB24_177
.LBB24_145:
	v_and_b32_e32 v1, 0x3ff, v0
	s_mul_i32 s8, s19, s33
	v_bfe_u32 v3, v0, 10, 10
	s_cmp_lg_u32 s42, 0
	v_add_u32_e32 v2, s8, v1
	s_cselect_b64 s[12:13], -1, 0
	s_cmp_gt_i32 s19, 0
	v_mul_lo_u32 v7, s19, v2
	v_mul_u32_u24_e32 v2, 0x110, v3
	v_lshlrev_b32_e32 v4, 4, v1
	s_movk_i32 s10, 0x1100
	s_cselect_b64 s[8:9], -1, 0
	v_add3_u32 v8, v2, v4, s10
	v_mul_u32_u24_e32 v2, 0x110, v1
	v_lshlrev_b32_e32 v4, 4, v3
	s_movk_i32 s10, 0x1110
	v_add3_u32 v9, v4, v2, s10
	v_cndmask_b32_e64 v2, 0, 1, s[8:9]
	v_cmp_gt_i32_e64 s[4:5], s19, v1
	v_cmp_gt_i32_e64 s[6:7], s19, v3
	v_add_u32_e32 v6, 1, v3
	s_mul_i32 s36, s19, s19
	s_lshl_b32 s37, s19, 4
	s_movk_i32 s40, 0x110
	v_add_u32_e32 v10, 16, v4
	v_cmp_ne_u32_e64 s[8:9], 1, v2
.LBB24_146:                             ; =>This Loop Header: Depth=1
                                        ;     Child Loop BB24_149 Depth 2
                                        ;       Child Loop BB24_152 Depth 3
                                        ;     Child Loop BB24_159 Depth 2
                                        ;       Child Loop BB24_162 Depth 3
                                        ;         Child Loop BB24_164 Depth 4
                                        ;     Child Loop BB24_168 Depth 2
                                        ;       Child Loop BB24_171 Depth 3
	s_mul_i32 s41, s33, s19
	s_waitcnt lgkmcnt(0)
	s_and_saveexec_b64 s[10:11], s[4:5]
	s_cbranch_execz .LBB24_156
; %bb.147:                              ;   in Loop: Header=BB24_146 Depth=1
	s_mov_b64 s[16:17], 0
	v_mov_b32_e32 v11, v8
	v_mov_b32_e32 v12, v7
	;; [unrolled: 1-line block ×3, first 2 shown]
	s_branch .LBB24_149
.LBB24_148:                             ;   in Loop: Header=BB24_149 Depth=2
	s_or_b64 exec, exec, s[20:21]
	v_add_u32_e32 v2, 16, v2
	v_cmp_le_i32_e32 vcc, s19, v2
	v_add_u32_e32 v12, s37, v12
	s_or_b64 s[16:17], vcc, s[16:17]
	v_add_u32_e32 v11, 0x100, v11
	s_andn2_b64 exec, exec, s[16:17]
	s_cbranch_execz .LBB24_156
.LBB24_149:                             ;   Parent Loop BB24_146 Depth=1
                                        ; =>  This Loop Header: Depth=2
                                        ;       Child Loop BB24_152 Depth 3
	s_and_saveexec_b64 s[20:21], s[6:7]
	s_cbranch_execz .LBB24_148
; %bb.150:                              ;   in Loop: Header=BB24_149 Depth=2
	s_mov_b64 s[22:23], 0
	v_mov_b32_e32 v13, v11
	v_mov_b32_e32 v14, v3
	s_branch .LBB24_152
.LBB24_151:                             ;   in Loop: Header=BB24_152 Depth=3
	v_ashrrev_i32_e32 v5, 31, v4
	v_lshlrev_b64 v[4:5], 4, v[4:5]
	v_mov_b32_e32 v15, s25
	v_add_co_u32_e32 v4, vcc, s24, v4
	v_addc_co_u32_e32 v5, vcc, v15, v5, vcc
	global_load_dwordx4 v[16:19], v[4:5], off
	v_add_u32_e32 v14, 4, v14
	v_cmp_le_i32_e32 vcc, s19, v14
	s_or_b64 s[22:23], vcc, s[22:23]
	s_waitcnt vmcnt(0)
	ds_write2_b64 v13, v[16:17], v[18:19] offset1:1
	v_add_u32_e32 v13, 0x440, v13
	s_andn2_b64 exec, exec, s[22:23]
	s_cbranch_execz .LBB24_148
.LBB24_152:                             ;   Parent Loop BB24_146 Depth=1
                                        ;     Parent Loop BB24_149 Depth=2
                                        ; =>    This Inner Loop Header: Depth=3
	s_and_b64 vcc, exec, s[12:13]
	s_cbranch_vccz .LBB24_154
; %bb.153:                              ;   in Loop: Header=BB24_152 Depth=3
	v_add_u32_e32 v4, s41, v14
	v_mad_u64_u32 v[4:5], s[26:27], v4, s19, v[2:3]
	s_cbranch_execnz .LBB24_151
	s_branch .LBB24_155
.LBB24_154:                             ;   in Loop: Header=BB24_152 Depth=3
                                        ; implicit-def: $vgpr4
.LBB24_155:                             ;   in Loop: Header=BB24_152 Depth=3
	v_add_u32_e32 v4, v12, v14
	s_branch .LBB24_151
.LBB24_156:                             ;   in Loop: Header=BB24_146 Depth=1
	s_or_b64 exec, exec, s[10:11]
	s_and_b64 vcc, exec, s[8:9]
	s_waitcnt lgkmcnt(0)
	s_cbranch_vccnz .LBB24_165
; %bb.157:                              ;   in Loop: Header=BB24_146 Depth=1
	s_mov_b32 s42, 0
	v_mov_b32_e32 v2, v10
	v_mov_b32_e32 v4, v9
	s_branch .LBB24_159
.LBB24_158:                             ;   in Loop: Header=BB24_159 Depth=2
	s_or_b64 exec, exec, s[16:17]
	s_add_i32 s42, s42, 1
	v_add_u32_e32 v4, 16, v4
	s_cmp_eq_u32 s42, s19
	v_add_u32_e32 v2, 0x120, v2
	s_cbranch_scc1 .LBB24_165
.LBB24_159:                             ;   Parent Loop BB24_146 Depth=1
                                        ; =>  This Loop Header: Depth=2
                                        ;       Child Loop BB24_162 Depth 3
                                        ;         Child Loop BB24_164 Depth 4
	s_and_saveexec_b64 s[16:17], s[4:5]
	s_cbranch_execz .LBB24_158
; %bb.160:                              ;   in Loop: Header=BB24_159 Depth=2
	v_add_u32_e32 v5, s42, v6
	s_lshl_b32 s43, s42, 4
	v_cmp_gt_i32_e32 vcc, s19, v5
	s_mov_b64 s[20:21], 0
	s_addk_i32 s43, 0x1100
	v_mov_b32_e32 v11, v4
	v_mov_b32_e32 v12, v1
	s_branch .LBB24_162
.LBB24_161:                             ;   in Loop: Header=BB24_162 Depth=3
	s_or_b64 exec, exec, s[22:23]
	v_add_u32_e32 v12, 16, v12
	v_cmp_le_i32_e64 s[10:11], s19, v12
	s_or_b64 s[20:21], s[10:11], s[20:21]
	v_add_u32_e32 v11, 0x1100, v11
	s_andn2_b64 exec, exec, s[20:21]
	s_cbranch_execz .LBB24_158
.LBB24_162:                             ;   Parent Loop BB24_146 Depth=1
                                        ;     Parent Loop BB24_159 Depth=2
                                        ; =>    This Loop Header: Depth=3
                                        ;         Child Loop BB24_164 Depth 4
	s_and_saveexec_b64 s[22:23], vcc
	s_cbranch_execz .LBB24_161
; %bb.163:                              ;   in Loop: Header=BB24_162 Depth=3
	v_mul_lo_u32 v13, v12, s40
	v_add_u32_e32 v13, s43, v13
	s_mov_b64 s[26:27], 0
	v_mov_b32_e32 v14, v2
	v_mov_b32_e32 v15, v11
	v_mov_b32_e32 v16, v5
.LBB24_164:                             ;   Parent Loop BB24_146 Depth=1
                                        ;     Parent Loop BB24_159 Depth=2
                                        ;       Parent Loop BB24_162 Depth=3
                                        ; =>      This Inner Loop Header: Depth=4
	ds_read_b128 v[18:21], v14
	ds_read_b128 v[22:25], v13
	;; [unrolled: 1-line block ×3, first 2 shown]
	v_add_u32_e32 v16, 4, v16
	v_cmp_le_i32_e64 s[10:11], s19, v16
	s_or_b64 s[26:27], s[10:11], s[26:27]
	v_add_u32_e32 v14, 64, v14
	s_waitcnt lgkmcnt(0)
	v_fma_f64 v[26:27], -v[18:19], v[22:23], v[26:27]
	v_fma_f64 v[22:23], -v[20:21], v[22:23], v[28:29]
	v_fmac_f64_e32 v[26:27], v[20:21], v[24:25]
	v_fma_f64 v[28:29], -v[18:19], v[24:25], v[22:23]
	ds_write_b128 v15, v[26:29]
	v_add_u32_e32 v15, 64, v15
	s_andn2_b64 exec, exec, s[26:27]
	s_cbranch_execnz .LBB24_164
	s_branch .LBB24_161
.LBB24_165:                             ;   in Loop: Header=BB24_146 Depth=1
	s_waitcnt lgkmcnt(0)
	s_and_saveexec_b64 s[10:11], s[4:5]
	s_cbranch_execz .LBB24_175
; %bb.166:                              ;   in Loop: Header=BB24_146 Depth=1
	s_mov_b64 s[16:17], 0
	v_mov_b32_e32 v11, v8
	v_mov_b32_e32 v12, v7
	;; [unrolled: 1-line block ×3, first 2 shown]
	s_branch .LBB24_168
.LBB24_167:                             ;   in Loop: Header=BB24_168 Depth=2
	s_or_b64 exec, exec, s[20:21]
	v_add_u32_e32 v2, 16, v2
	v_cmp_le_i32_e32 vcc, s19, v2
	v_add_u32_e32 v12, s37, v12
	s_or_b64 s[16:17], vcc, s[16:17]
	v_add_u32_e32 v11, 0x100, v11
	s_andn2_b64 exec, exec, s[16:17]
	s_cbranch_execz .LBB24_175
.LBB24_168:                             ;   Parent Loop BB24_146 Depth=1
                                        ; =>  This Loop Header: Depth=2
                                        ;       Child Loop BB24_171 Depth 3
	s_and_saveexec_b64 s[20:21], s[6:7]
	s_cbranch_execz .LBB24_167
; %bb.169:                              ;   in Loop: Header=BB24_168 Depth=2
	s_mov_b64 s[22:23], 0
	v_mov_b32_e32 v13, v11
	v_mov_b32_e32 v14, v3
	s_branch .LBB24_171
.LBB24_170:                             ;   in Loop: Header=BB24_171 Depth=3
	v_ashrrev_i32_e32 v5, 31, v4
	v_lshlrev_b64 v[4:5], 4, v[4:5]
	ds_read2_b64 v[16:19], v13 offset1:1
	v_mov_b32_e32 v15, s25
	v_add_co_u32_e32 v4, vcc, s24, v4
	v_addc_co_u32_e32 v5, vcc, v15, v5, vcc
	v_add_u32_e32 v14, 4, v14
	v_cmp_le_i32_e32 vcc, s19, v14
	s_or_b64 s[22:23], vcc, s[22:23]
	v_add_u32_e32 v13, 0x440, v13
	s_waitcnt lgkmcnt(0)
	global_store_dwordx4 v[4:5], v[16:19], off
	s_andn2_b64 exec, exec, s[22:23]
	s_cbranch_execz .LBB24_167
.LBB24_171:                             ;   Parent Loop BB24_146 Depth=1
                                        ;     Parent Loop BB24_168 Depth=2
                                        ; =>    This Inner Loop Header: Depth=3
	s_and_b64 vcc, exec, s[12:13]
	s_cbranch_vccz .LBB24_173
; %bb.172:                              ;   in Loop: Header=BB24_171 Depth=3
	v_add_u32_e32 v4, s41, v14
	v_mad_u64_u32 v[4:5], s[26:27], v4, s19, v[2:3]
	s_cbranch_execnz .LBB24_170
	s_branch .LBB24_174
.LBB24_173:                             ;   in Loop: Header=BB24_171 Depth=3
                                        ; implicit-def: $vgpr4
.LBB24_174:                             ;   in Loop: Header=BB24_171 Depth=3
	v_add_u32_e32 v4, v12, v14
	s_branch .LBB24_170
.LBB24_175:                             ;   in Loop: Header=BB24_146 Depth=1
	s_or_b64 exec, exec, s[10:11]
; %bb.176:                              ;   in Loop: Header=BB24_146 Depth=1
	s_add_i32 s33, s33, 1
	s_cmp_ge_i32 s33, s31
	v_add_u32_e32 v7, s36, v7
	s_cbranch_scc0 .LBB24_146
.LBB24_177:
	v_and_b32_e32 v1, 0x3ff, v0
	v_bfe_u32 v0, v0, 10, 10
	v_or_b32_e32 v0, v1, v0
	v_cmp_eq_u32_e32 vcc, 0, v0
	s_and_saveexec_b64 s[4:5], vcc
	s_cbranch_execz .LBB24_181
; %bb.178:
	s_add_u32 s4, s28, s38
	s_addc_u32 s5, s29, s39
	v_mov_b32_e32 v0, 0
	v_mov_b32_e32 v1, 1
	s_waitcnt vmcnt(0)
	global_store_dword v0, v1, s[4:5]
	s_and_b64 exec, exec, s[14:15]
	s_cbranch_execz .LBB24_181
; %bb.179:
	v_mbcnt_lo_u32_b32 v0, exec_lo, 0
	v_mbcnt_hi_u32_b32 v0, exec_hi, v0
	v_cmp_eq_u32_e32 vcc, 0, v0
	s_and_b64 exec, exec, vcc
	s_cbranch_execz .LBB24_181
; %bb.180:
	s_add_i32 s4, s30, s18
	v_mov_b32_e32 v0, 0
	v_mov_b32_e32 v1, s4
	global_atomic_smin v0, v1, s[34:35]
.LBB24_181:
	s_endpgm
	.section	.rodata,"a",@progbits
	.p2align	6, 0x0
	.amdhsa_kernel _ZN9rocsparseL12bsrilu0_9_32ILj64ELj64ELj16E21rocsparse_complex_numIdEEEv20rocsparse_direction_iPKiS5_PT2_S5_iPiS5_S8_21rocsparse_index_base_imNS_24const_host_device_scalarIfEENSA_IdEENSA_IS6_EEb
		.amdhsa_group_segment_fixed_size 8704
		.amdhsa_private_segment_fixed_size 48
		.amdhsa_kernarg_size 124
		.amdhsa_user_sgpr_count 8
		.amdhsa_user_sgpr_private_segment_buffer 1
		.amdhsa_user_sgpr_dispatch_ptr 0
		.amdhsa_user_sgpr_queue_ptr 0
		.amdhsa_user_sgpr_kernarg_segment_ptr 1
		.amdhsa_user_sgpr_dispatch_id 0
		.amdhsa_user_sgpr_flat_scratch_init 1
		.amdhsa_user_sgpr_kernarg_preload_length 0
		.amdhsa_user_sgpr_kernarg_preload_offset 0
		.amdhsa_user_sgpr_private_segment_size 0
		.amdhsa_uses_dynamic_stack 0
		.amdhsa_system_sgpr_private_segment_wavefront_offset 1
		.amdhsa_system_sgpr_workgroup_id_x 1
		.amdhsa_system_sgpr_workgroup_id_y 0
		.amdhsa_system_sgpr_workgroup_id_z 0
		.amdhsa_system_sgpr_workgroup_info 0
		.amdhsa_system_vgpr_workitem_id 1
		.amdhsa_next_free_vgpr 46
		.amdhsa_next_free_sgpr 67
		.amdhsa_accum_offset 48
		.amdhsa_reserve_vcc 1
		.amdhsa_reserve_flat_scratch 1
		.amdhsa_float_round_mode_32 0
		.amdhsa_float_round_mode_16_64 0
		.amdhsa_float_denorm_mode_32 3
		.amdhsa_float_denorm_mode_16_64 3
		.amdhsa_dx10_clamp 1
		.amdhsa_ieee_mode 1
		.amdhsa_fp16_overflow 0
		.amdhsa_tg_split 0
		.amdhsa_exception_fp_ieee_invalid_op 0
		.amdhsa_exception_fp_denorm_src 0
		.amdhsa_exception_fp_ieee_div_zero 0
		.amdhsa_exception_fp_ieee_overflow 0
		.amdhsa_exception_fp_ieee_underflow 0
		.amdhsa_exception_fp_ieee_inexact 0
		.amdhsa_exception_int_div_zero 0
	.end_amdhsa_kernel
	.section	.text._ZN9rocsparseL12bsrilu0_9_32ILj64ELj64ELj16E21rocsparse_complex_numIdEEEv20rocsparse_direction_iPKiS5_PT2_S5_iPiS5_S8_21rocsparse_index_base_imNS_24const_host_device_scalarIfEENSA_IdEENSA_IS6_EEb,"axG",@progbits,_ZN9rocsparseL12bsrilu0_9_32ILj64ELj64ELj16E21rocsparse_complex_numIdEEEv20rocsparse_direction_iPKiS5_PT2_S5_iPiS5_S8_21rocsparse_index_base_imNS_24const_host_device_scalarIfEENSA_IdEENSA_IS6_EEb,comdat
.Lfunc_end24:
	.size	_ZN9rocsparseL12bsrilu0_9_32ILj64ELj64ELj16E21rocsparse_complex_numIdEEEv20rocsparse_direction_iPKiS5_PT2_S5_iPiS5_S8_21rocsparse_index_base_imNS_24const_host_device_scalarIfEENSA_IdEENSA_IS6_EEb, .Lfunc_end24-_ZN9rocsparseL12bsrilu0_9_32ILj64ELj64ELj16E21rocsparse_complex_numIdEEEv20rocsparse_direction_iPKiS5_PT2_S5_iPiS5_S8_21rocsparse_index_base_imNS_24const_host_device_scalarIfEENSA_IdEENSA_IS6_EEb
                                        ; -- End function
	.section	.AMDGPU.csdata,"",@progbits
; Kernel info:
; codeLenInByte = 5820
; NumSgprs: 73
; NumVgprs: 46
; NumAgprs: 0
; TotalNumVgprs: 46
; ScratchSize: 48
; MemoryBound: 0
; FloatMode: 240
; IeeeMode: 1
; LDSByteSize: 8704 bytes/workgroup (compile time only)
; SGPRBlocks: 9
; VGPRBlocks: 5
; NumSGPRsForWavesPerEU: 73
; NumVGPRsForWavesPerEU: 46
; AccumOffset: 48
; Occupancy: 2
; WaveLimiterHint : 1
; COMPUTE_PGM_RSRC2:SCRATCH_EN: 1
; COMPUTE_PGM_RSRC2:USER_SGPR: 8
; COMPUTE_PGM_RSRC2:TRAP_HANDLER: 0
; COMPUTE_PGM_RSRC2:TGID_X_EN: 1
; COMPUTE_PGM_RSRC2:TGID_Y_EN: 0
; COMPUTE_PGM_RSRC2:TGID_Z_EN: 0
; COMPUTE_PGM_RSRC2:TIDIG_COMP_CNT: 1
; COMPUTE_PGM_RSRC3_GFX90A:ACCUM_OFFSET: 11
; COMPUTE_PGM_RSRC3_GFX90A:TG_SPLIT: 0
	.section	.text._ZN9rocsparseL12bsrilu0_9_32ILj64ELj64ELj32E21rocsparse_complex_numIdEEEv20rocsparse_direction_iPKiS5_PT2_S5_iPiS5_S8_21rocsparse_index_base_imNS_24const_host_device_scalarIfEENSA_IdEENSA_IS6_EEb,"axG",@progbits,_ZN9rocsparseL12bsrilu0_9_32ILj64ELj64ELj32E21rocsparse_complex_numIdEEEv20rocsparse_direction_iPKiS5_PT2_S5_iPiS5_S8_21rocsparse_index_base_imNS_24const_host_device_scalarIfEENSA_IdEENSA_IS6_EEb,comdat
	.globl	_ZN9rocsparseL12bsrilu0_9_32ILj64ELj64ELj32E21rocsparse_complex_numIdEEEv20rocsparse_direction_iPKiS5_PT2_S5_iPiS5_S8_21rocsparse_index_base_imNS_24const_host_device_scalarIfEENSA_IdEENSA_IS6_EEb ; -- Begin function _ZN9rocsparseL12bsrilu0_9_32ILj64ELj64ELj32E21rocsparse_complex_numIdEEEv20rocsparse_direction_iPKiS5_PT2_S5_iPiS5_S8_21rocsparse_index_base_imNS_24const_host_device_scalarIfEENSA_IdEENSA_IS6_EEb
	.p2align	8
	.type	_ZN9rocsparseL12bsrilu0_9_32ILj64ELj64ELj32E21rocsparse_complex_numIdEEEv20rocsparse_direction_iPKiS5_PT2_S5_iPiS5_S8_21rocsparse_index_base_imNS_24const_host_device_scalarIfEENSA_IdEENSA_IS6_EEb,@function
_ZN9rocsparseL12bsrilu0_9_32ILj64ELj64ELj32E21rocsparse_complex_numIdEEEv20rocsparse_direction_iPKiS5_PT2_S5_iPiS5_S8_21rocsparse_index_base_imNS_24const_host_device_scalarIfEENSA_IdEENSA_IS6_EEb: ; @_ZN9rocsparseL12bsrilu0_9_32ILj64ELj64ELj32E21rocsparse_complex_numIdEEEv20rocsparse_direction_iPKiS5_PT2_S5_iPiS5_S8_21rocsparse_index_base_imNS_24const_host_device_scalarIfEENSA_IdEENSA_IS6_EEb
; %bb.0:
	s_add_u32 flat_scratch_lo, s6, s9
	s_load_dword s6, s[4:5], 0x78
	s_load_dwordx8 s[36:43], s[4:5], 0x50
	s_load_dwordx2 s[10:11], s[4:5], 0x70
	s_load_dwordx2 s[18:19], s[4:5], 0x48
	s_addc_u32 flat_scratch_hi, s7, 0
	s_add_u32 s0, s0, s9
	s_addc_u32 s1, s1, 0
	s_waitcnt lgkmcnt(0)
	s_bitcmp1_b32 s6, 0
	s_cselect_b64 s[6:7], -1, 0
	s_cmp_lg_u32 s19, 0
	s_cselect_b64 s[12:13], -1, 0
	s_cmp_eq_u32 s19, 0
	s_cselect_b64 s[20:21], -1, 0
	s_and_b64 s[14:15], s[20:21], exec
	v_mov_b32_e32 v1, s42
	s_cselect_b32 s16, 0, s40
	s_cselect_b32 s17, 0, s41
	s_or_b64 s[22:23], s[20:21], s[6:7]
	buffer_store_dword v1, off, s[0:3], 0 offset:32
	v_mov_b32_e32 v1, s43
	s_xor_b64 s[14:15], s[22:23], -1
	s_and_b64 vcc, exec, s[22:23]
	buffer_store_dword v1, off, s[0:3], 0 offset:36
	s_cbranch_vccnz .LBB25_2
; %bb.1:
	s_load_dword s9, s[38:39], 0x0
	s_mov_b64 s[16:17], s[40:41]
	s_waitcnt lgkmcnt(0)
	v_mov_b32_e32 v1, s9
	s_andn2_b64 vcc, exec, s[14:15]
	v_pk_mov_b32 v[10:11], s[16:17], s[16:17] op_sel:[0,1]
	s_cbranch_vccz .LBB25_3
	s_branch .LBB25_4
.LBB25_2:
	v_mov_b32_e32 v1, s38
	v_cndmask_b32_e64 v1, v1, 0, s[20:21]
	s_andn2_b64 vcc, exec, s[14:15]
	v_pk_mov_b32 v[10:11], s[16:17], s[16:17] op_sel:[0,1]
	s_cbranch_vccnz .LBB25_4
.LBB25_3:
	v_pk_mov_b32 v[2:3], s[40:41], s[40:41] op_sel:[0,1]
	flat_load_dwordx2 v[10:11], v[2:3]
.LBB25_4:
	v_cndmask_b32_e64 v2, 0, 1, s[12:13]
	v_cmp_ne_u32_e64 s[16:17], 1, v2
	v_pk_mov_b32 v[2:3], 0, 0
	s_andn2_b64 vcc, exec, s[12:13]
	v_pk_mov_b32 v[4:5], v[2:3], v[2:3] op_sel:[0,1]
	s_cbranch_vccnz .LBB25_7
; %bb.5:
	s_xor_b64 s[14:15], s[6:7], -1
	s_mov_b64 s[12:13], src_private_base
	s_and_b64 s[20:21], s[6:7], exec
	s_cselect_b32 s9, s13, s43
	v_mov_b32_e32 v2, 32
	v_mov_b32_e32 v3, s42
	v_cndmask_b32_e64 v2, v3, v2, s[6:7]
	v_mov_b32_e32 v3, s9
	flat_load_dwordx2 v[2:3], v[2:3]
	s_andn2_b64 vcc, exec, s[14:15]
	v_pk_mov_b32 v[4:5], s[10:11], s[10:11] op_sel:[0,1]
	s_cbranch_vccnz .LBB25_7
; %bb.6:
	v_pk_mov_b32 v[4:5], s[42:43], s[42:43] op_sel:[0,1]
	flat_load_dwordx2 v[4:5], v[4:5] offset:8
.LBB25_7:
	s_load_dwordx4 s[28:31], s[4:5], 0x30
	s_load_dwordx2 s[34:35], s[4:5], 0x40
	s_mov_b32 s9, 0
	s_lshl_b64 s[6:7], s[8:9], 2
	s_waitcnt lgkmcnt(0)
	s_add_u32 s6, s30, s6
	s_addc_u32 s7, s31, s7
	s_load_dword s30, s[6:7], 0x0
	s_load_dwordx8 s[20:27], s[4:5], 0x8
	s_waitcnt lgkmcnt(0)
	s_ashr_i32 s31, s30, 31
	s_lshl_b64 s[38:39], s[30:31], 2
	s_add_u32 s6, s26, s38
	s_addc_u32 s7, s27, s39
	s_load_dword s40, s[6:7], 0x0
	s_waitcnt vmcnt(0)
	buffer_store_dword v3, off, s[0:3], 0 offset:4
	buffer_store_dword v2, off, s[0:3], 0
	buffer_store_dword v5, off, s[0:3], 0 offset:12
	buffer_store_dword v4, off, s[0:3], 0 offset:8
	s_waitcnt lgkmcnt(0)
	s_cmp_eq_u32 s40, -1
	s_cbranch_scc1 .LBB25_104
; %bb.8:
	s_add_u32 s6, s20, s38
	s_addc_u32 s7, s21, s39
	s_load_dwordx2 s[8:9], s[6:7], 0x0
	s_load_dwordx2 s[42:43], s[4:5], 0x0
	s_load_dword s19, s[4:5], 0x28
	s_mov_b64 s[44:45], 0
	s_waitcnt lgkmcnt(0)
	s_sub_i32 s46, s8, s18
	s_sub_i32 s31, s9, s18
	s_cmp_ge_i32 s46, s40
	s_cbranch_scc1 .LBB25_93
; %bb.9:
	v_bfe_u32 v19, v0, 10, 10
	v_and_b32_e32 v18, 0x3ff, v0
	v_lshlrev_b32_e32 v2, 5, v19
	s_cmp_lg_u32 s42, 0
	v_add3_u32 v12, v2, v18, s46
	s_cselect_b64 s[48:49], -1, 0
	s_cmp_gt_i32 s19, 0
	v_ashrrev_i32_e32 v13, 31, v12
	s_cselect_b64 s[50:51], -1, 0
	s_add_i32 s33, s43, 1
	v_lshlrev_b64 v[2:3], 2, v[12:13]
	s_mul_i32 s4, s19, s46
	v_add_co_u32_e32 v14, vcc, s22, v2
	s_add_u32 s41, s20, 4
	v_add_u32_e32 v2, s4, v18
	s_addc_u32 s43, s21, 0
	v_mul_lo_u32 v13, s19, v2
	s_movk_i32 s4, 0x210
	v_lshlrev_b32_e32 v2, 4, v18
	v_mov_b32_e32 v4, s23
	s_add_u32 s62, s22, 0x100
	v_mad_u32_u24 v22, v19, s4, v2
	v_add_u32_e32 v26, 0x4200, v2
	v_mbcnt_lo_u32_b32 v2, -1, 0
	v_cmp_gt_i32_e64 s[6:7], s19, v18
	v_cmp_le_i32_e64 s[8:9], s19, v18
	v_cmp_gt_i32_e64 s[10:11], s19, v19
	v_cmp_eq_u32_e64 s[12:13], 0, v19
	v_add_u32_e32 v20, 1, v19
	v_cmp_gt_i32_e64 s[14:15], s31, v12
	v_addc_co_u32_e32 v15, vcc, v4, v3, vcc
	s_addc_u32 s63, s23, 0
	s_mul_i32 s64, s19, s19
	s_lshl_b32 s65, s19, 5
	v_mul_u32_u24_e32 v21, 0x210, v19
	v_add_u32_e32 v23, 0x4200, v22
	v_add_u32_e32 v24, 0x4410, v22
	v_mad_u32_u24 v25, v19, s4, s4
	v_mov_b32_e32 v27, 0
	v_mbcnt_hi_u32_b32 v28, -1, v2
	s_branch .LBB25_12
.LBB25_10:                              ;   in Loop: Header=BB25_12 Depth=1
	s_mov_b64 s[44:45], -1
.LBB25_11:                              ;   in Loop: Header=BB25_12 Depth=1
	s_add_i32 s46, s46, 1
	s_cmp_lt_i32 s46, s40
	s_cselect_b64 s[4:5], -1, 0
	s_and_b64 s[4:5], s[20:21], s[4:5]
	v_add_u32_e32 v13, s64, v13
	s_and_b64 vcc, exec, s[4:5]
	s_cbranch_vccz .LBB25_93
.LBB25_12:                              ; =>This Loop Header: Depth=1
                                        ;     Child Loop BB25_15 Depth 2
                                        ;       Child Loop BB25_18 Depth 3
                                        ;     Child Loop BB25_24 Depth 2
                                        ;     Child Loop BB25_28 Depth 2
                                        ;       Child Loop BB25_31 Depth 3
                                        ;     Child Loop BB25_38 Depth 2
                                        ;       Child Loop BB25_41 Depth 3
                                        ;         Child Loop BB25_45 Depth 4
                                        ;     Child Loop BB25_49 Depth 2
                                        ;       Child Loop BB25_52 Depth 3
                                        ;     Child Loop BB25_61 Depth 2
                                        ;       Child Loop BB25_66 Depth 3
                                        ;       Child Loop BB25_75 Depth 3
                                        ;         Child Loop BB25_78 Depth 4
                                        ;       Child Loop BB25_84 Depth 3
                                        ;         Child Loop BB25_87 Depth 4
                                        ;           Child Loop BB25_88 Depth 5
	s_ashr_i32 s47, s46, 31
	s_lshl_b64 s[4:5], s[46:47], 2
	s_add_u32 s4, s22, s4
	s_addc_u32 s5, s23, s5
	global_load_dword v2, v27, s[4:5]
	s_waitcnt vmcnt(0)
	v_readfirstlane_b32 s47, v2
	s_and_saveexec_b64 s[4:5], s[6:7]
	s_cbranch_execz .LBB25_22
; %bb.13:                               ;   in Loop: Header=BB25_12 Depth=1
	s_mul_i32 s58, s46, s19
	s_mov_b64 s[20:21], 0
	v_mov_b32_e32 v3, v23
	v_mov_b32_e32 v6, v13
	;; [unrolled: 1-line block ×3, first 2 shown]
	s_branch .LBB25_15
.LBB25_14:                              ;   in Loop: Header=BB25_15 Depth=2
	s_or_b64 exec, exec, s[52:53]
	v_add_u32_e32 v2, 32, v2
	v_cmp_le_i32_e32 vcc, s19, v2
	v_add_u32_e32 v6, s65, v6
	s_or_b64 s[20:21], vcc, s[20:21]
	v_add_u32_e32 v3, 0x200, v3
	s_andn2_b64 exec, exec, s[20:21]
	s_cbranch_execz .LBB25_22
.LBB25_15:                              ;   Parent Loop BB25_12 Depth=1
                                        ; =>  This Loop Header: Depth=2
                                        ;       Child Loop BB25_18 Depth 3
	s_and_saveexec_b64 s[52:53], s[10:11]
	s_cbranch_execz .LBB25_14
; %bb.16:                               ;   in Loop: Header=BB25_15 Depth=2
	s_mov_b64 s[54:55], 0
	v_mov_b32_e32 v7, v3
	v_mov_b32_e32 v8, v19
	s_branch .LBB25_18
.LBB25_17:                              ;   in Loop: Header=BB25_18 Depth=3
	v_ashrrev_i32_e32 v5, 31, v4
	v_lshlrev_b64 v[4:5], 4, v[4:5]
	v_mov_b32_e32 v9, s25
	v_add_co_u32_e32 v4, vcc, s24, v4
	v_addc_co_u32_e32 v5, vcc, v9, v5, vcc
	global_load_dwordx4 v[30:33], v[4:5], off
	v_add_u32_e32 v8, 2, v8
	v_cmp_le_i32_e32 vcc, s19, v8
	s_or_b64 s[54:55], vcc, s[54:55]
	s_waitcnt vmcnt(0)
	ds_write2_b64 v7, v[30:31], v[32:33] offset1:1
	v_add_u32_e32 v7, 0x420, v7
	s_andn2_b64 exec, exec, s[54:55]
	s_cbranch_execz .LBB25_14
.LBB25_18:                              ;   Parent Loop BB25_12 Depth=1
                                        ;     Parent Loop BB25_15 Depth=2
                                        ; =>    This Inner Loop Header: Depth=3
	s_and_b64 vcc, exec, s[48:49]
	s_cbranch_vccz .LBB25_20
; %bb.19:                               ;   in Loop: Header=BB25_18 Depth=3
	v_add_u32_e32 v4, s58, v8
	v_mad_u64_u32 v[4:5], s[56:57], v4, s19, v[2:3]
	s_cbranch_execnz .LBB25_17
	s_branch .LBB25_21
.LBB25_20:                              ;   in Loop: Header=BB25_18 Depth=3
                                        ; implicit-def: $vgpr4
.LBB25_21:                              ;   in Loop: Header=BB25_18 Depth=3
	v_add_u32_e32 v4, v6, v8
	s_branch .LBB25_17
.LBB25_22:                              ;   in Loop: Header=BB25_12 Depth=1
	s_or_b64 exec, exec, s[4:5]
	s_sub_i32 s4, s47, s18
	s_ashr_i32 s5, s4, 31
	s_lshl_b64 s[4:5], s[4:5], 2
	s_add_u32 s20, s26, s4
	s_addc_u32 s21, s27, s5
	global_load_dword v2, v27, s[20:21]
	s_waitcnt vmcnt(0)
	v_readfirstlane_b32 s47, v2
	v_cmp_eq_u32_e32 vcc, -1, v2
	s_cmp_lg_u32 s47, -1
	s_cselect_b64 s[20:21], -1, 0
	s_cbranch_vccnz .LBB25_10
; %bb.23:                               ;   in Loop: Header=BB25_12 Depth=1
	s_add_u32 s52, s41, s4
	s_addc_u32 s53, s43, s5
	global_load_dword v2, v27, s[52:53]
	s_add_u32 s4, s28, s4
	s_addc_u32 s5, s29, s5
	s_waitcnt vmcnt(0)
	v_readfirstlane_b32 s60, v2
.LBB25_24:                              ;   Parent Loop BB25_12 Depth=1
                                        ; =>  This Inner Loop Header: Depth=2
	global_load_dword v2, v27, s[4:5] glc
	s_waitcnt vmcnt(0)
	v_cmp_eq_u32_e32 vcc, 0, v2
	s_cbranch_vccnz .LBB25_24
; %bb.25:                               ;   in Loop: Header=BB25_12 Depth=1
	s_waitcnt lgkmcnt(0)
	buffer_wbinvl1_vol
	s_and_saveexec_b64 s[4:5], s[6:7]
	s_cbranch_execz .LBB25_35
; %bb.26:                               ;   in Loop: Header=BB25_12 Depth=1
	s_mul_i32 s61, s47, s19
	v_add_u32_e32 v2, s61, v18
	v_mul_lo_u32 v3, s19, v2
	s_mov_b64 s[52:53], 0
	v_mov_b32_e32 v6, v22
	v_mov_b32_e32 v2, v18
	s_branch .LBB25_28
.LBB25_27:                              ;   in Loop: Header=BB25_28 Depth=2
	s_or_b64 exec, exec, s[54:55]
	v_add_u32_e32 v2, 32, v2
	v_cmp_le_i32_e32 vcc, s19, v2
	v_add_u32_e32 v3, s65, v3
	s_or_b64 s[52:53], vcc, s[52:53]
	v_add_u32_e32 v6, 0x200, v6
	s_andn2_b64 exec, exec, s[52:53]
	s_cbranch_execz .LBB25_35
.LBB25_28:                              ;   Parent Loop BB25_12 Depth=1
                                        ; =>  This Loop Header: Depth=2
                                        ;       Child Loop BB25_31 Depth 3
	s_and_saveexec_b64 s[54:55], s[10:11]
	s_cbranch_execz .LBB25_27
; %bb.29:                               ;   in Loop: Header=BB25_28 Depth=2
	s_mov_b64 s[56:57], 0
	v_mov_b32_e32 v7, v6
	v_mov_b32_e32 v8, v19
	s_branch .LBB25_31
.LBB25_30:                              ;   in Loop: Header=BB25_31 Depth=3
	v_ashrrev_i32_e32 v5, 31, v4
	v_lshlrev_b64 v[4:5], 4, v[4:5]
	v_mov_b32_e32 v9, s25
	v_add_co_u32_e32 v4, vcc, s24, v4
	v_addc_co_u32_e32 v5, vcc, v9, v5, vcc
	global_load_dwordx4 v[30:33], v[4:5], off
	v_add_u32_e32 v8, 2, v8
	v_cmp_le_i32_e32 vcc, s19, v8
	s_or_b64 s[56:57], vcc, s[56:57]
	s_waitcnt vmcnt(0)
	ds_write2_b64 v7, v[30:31], v[32:33] offset1:1
	v_add_u32_e32 v7, 0x420, v7
	s_andn2_b64 exec, exec, s[56:57]
	s_cbranch_execz .LBB25_27
.LBB25_31:                              ;   Parent Loop BB25_12 Depth=1
                                        ;     Parent Loop BB25_28 Depth=2
                                        ; =>    This Inner Loop Header: Depth=3
	s_and_b64 vcc, exec, s[48:49]
	s_cbranch_vccz .LBB25_33
; %bb.32:                               ;   in Loop: Header=BB25_31 Depth=3
	v_add_u32_e32 v4, s61, v8
	v_mad_u64_u32 v[4:5], s[58:59], v4, s19, v[2:3]
	s_cbranch_execnz .LBB25_30
	s_branch .LBB25_34
.LBB25_33:                              ;   in Loop: Header=BB25_31 Depth=3
                                        ; implicit-def: $vgpr4
.LBB25_34:                              ;   in Loop: Header=BB25_31 Depth=3
	v_add_u32_e32 v4, v3, v8
	s_branch .LBB25_30
.LBB25_35:                              ;   in Loop: Header=BB25_12 Depth=1
	s_or_b64 exec, exec, s[4:5]
	s_andn2_b64 vcc, exec, s[50:51]
	s_waitcnt lgkmcnt(0)
	s_cbranch_vccnz .LBB25_46
; %bb.36:                               ;   in Loop: Header=BB25_12 Depth=1
	s_mov_b32 s61, 0
	v_mov_b32_e32 v29, v25
	v_mov_b32_e32 v30, v24
	s_branch .LBB25_38
.LBB25_37:                              ;   in Loop: Header=BB25_38 Depth=2
	s_or_b64 exec, exec, s[52:53]
	s_add_i32 s61, s61, 1
	v_add_u32_e32 v30, 0x210, v30
	s_cmp_eq_u32 s61, s19
	v_add_u32_e32 v29, 0x220, v29
	s_waitcnt lgkmcnt(0)
	s_cbranch_scc1 .LBB25_46
.LBB25_38:                              ;   Parent Loop BB25_12 Depth=1
                                        ; =>  This Loop Header: Depth=2
                                        ;       Child Loop BB25_41 Depth 3
                                        ;         Child Loop BB25_45 Depth 4
	s_and_saveexec_b64 s[52:53], s[6:7]
	s_cbranch_execz .LBB25_37
; %bb.39:                               ;   in Loop: Header=BB25_38 Depth=2
	s_lshl_b32 s4, s61, 4
	s_mul_i32 s66, s61, 0x210
	s_add_i32 s4, s66, s4
	v_mov_b32_e32 v2, s4
	ds_read_b128 v[2:5], v2
	v_add_u32_e32 v31, s61, v20
	s_mov_b64 s[54:55], 0
	s_waitcnt lgkmcnt(0)
	v_mul_f64 v[6:7], v[4:5], v[4:5]
	v_fmac_f64_e32 v[6:7], v[2:3], v[2:3]
	v_div_scale_f64 v[8:9], s[4:5], v[6:7], v[6:7], 1.0
	v_rcp_f64_e32 v[16:17], v[8:9]
	v_div_scale_f64 v[32:33], vcc, 1.0, v[6:7], 1.0
	v_cmp_gt_i32_e64 s[4:5], s19, v31
	v_fma_f64 v[34:35], -v[8:9], v[16:17], 1.0
	v_fmac_f64_e32 v[16:17], v[16:17], v[34:35]
	v_fma_f64 v[34:35], -v[8:9], v[16:17], 1.0
	v_fmac_f64_e32 v[16:17], v[16:17], v[34:35]
	v_mul_f64 v[34:35], v[32:33], v[16:17]
	v_fma_f64 v[8:9], -v[8:9], v[34:35], v[32:33]
	v_div_fmas_f64 v[8:9], v[8:9], v[16:17], v[34:35]
	v_div_fixup_f64 v[16:17], v[8:9], v[6:7], 1.0
	v_mov_b32_e32 v32, v30
	v_mov_b32_e32 v33, v18
	s_branch .LBB25_41
.LBB25_40:                              ;   in Loop: Header=BB25_41 Depth=3
	s_or_b64 exec, exec, s[56:57]
	v_add_u32_e32 v33, 32, v33
	v_cmp_le_i32_e32 vcc, s19, v33
	s_or_b64 s[54:55], vcc, s[54:55]
	v_add_u32_e32 v32, 0x200, v32
	s_andn2_b64 exec, exec, s[54:55]
	s_cbranch_execz .LBB25_37
.LBB25_41:                              ;   Parent Loop BB25_12 Depth=1
                                        ;     Parent Loop BB25_38 Depth=2
                                        ; =>    This Loop Header: Depth=3
                                        ;         Child Loop BB25_45 Depth 4
	v_lshl_add_u32 v34, v33, 4, s66
	ds_read_b128 v[6:9], v34 offset:16896
	s_waitcnt lgkmcnt(0)
	v_mul_f64 v[36:37], v[4:5], v[8:9]
	v_mul_f64 v[38:39], v[4:5], -v[6:7]
	v_fmac_f64_e32 v[36:37], v[6:7], v[2:3]
	v_fmac_f64_e32 v[38:39], v[8:9], v[2:3]
	v_mul_f64 v[6:7], v[16:17], v[36:37]
	v_mul_f64 v[8:9], v[16:17], v[38:39]
	s_and_saveexec_b64 s[56:57], s[12:13]
	s_cbranch_execz .LBB25_43
; %bb.42:                               ;   in Loop: Header=BB25_41 Depth=3
	v_add_u32_e32 v34, 0x4200, v34
	ds_write_b128 v34, v[6:9]
.LBB25_43:                              ;   in Loop: Header=BB25_41 Depth=3
	s_or_b64 exec, exec, s[56:57]
	s_and_saveexec_b64 s[56:57], s[4:5]
	s_cbranch_execz .LBB25_40
; %bb.44:                               ;   in Loop: Header=BB25_41 Depth=3
	s_mov_b64 s[58:59], 0
	v_mov_b32_e32 v34, v29
	v_mov_b32_e32 v35, v32
	;; [unrolled: 1-line block ×3, first 2 shown]
.LBB25_45:                              ;   Parent Loop BB25_12 Depth=1
                                        ;     Parent Loop BB25_38 Depth=2
                                        ;       Parent Loop BB25_41 Depth=3
                                        ; =>      This Inner Loop Header: Depth=4
	ds_read_b128 v[38:41], v34
	ds_read_b128 v[42:45], v35
	v_add_u32_e32 v36, 2, v36
	v_cmp_le_i32_e32 vcc, s19, v36
	s_or_b64 s[58:59], vcc, s[58:59]
	v_add_u32_e32 v34, 0x420, v34
	s_waitcnt lgkmcnt(0)
	v_fma_f64 v[42:43], -v[6:7], v[38:39], v[42:43]
	v_fma_f64 v[38:39], -v[8:9], v[38:39], v[44:45]
	v_fmac_f64_e32 v[42:43], v[8:9], v[40:41]
	v_fma_f64 v[44:45], -v[6:7], v[40:41], v[38:39]
	ds_write_b128 v35, v[42:45]
	v_add_u32_e32 v35, 0x420, v35
	s_andn2_b64 exec, exec, s[58:59]
	s_cbranch_execnz .LBB25_45
	s_branch .LBB25_40
.LBB25_46:                              ;   in Loop: Header=BB25_12 Depth=1
	s_and_saveexec_b64 s[4:5], s[6:7]
	s_cbranch_execz .LBB25_56
; %bb.47:                               ;   in Loop: Header=BB25_12 Depth=1
	s_mul_i32 s61, s46, s19
	s_mov_b64 s[52:53], 0
	v_mov_b32_e32 v3, v23
	v_mov_b32_e32 v6, v13
	;; [unrolled: 1-line block ×3, first 2 shown]
	s_branch .LBB25_49
.LBB25_48:                              ;   in Loop: Header=BB25_49 Depth=2
	s_or_b64 exec, exec, s[54:55]
	v_add_u32_e32 v2, 32, v2
	v_cmp_le_i32_e32 vcc, s19, v2
	v_add_u32_e32 v6, s65, v6
	s_or_b64 s[52:53], vcc, s[52:53]
	v_add_u32_e32 v3, 0x200, v3
	s_andn2_b64 exec, exec, s[52:53]
	s_cbranch_execz .LBB25_56
.LBB25_49:                              ;   Parent Loop BB25_12 Depth=1
                                        ; =>  This Loop Header: Depth=2
                                        ;       Child Loop BB25_52 Depth 3
	s_and_saveexec_b64 s[54:55], s[10:11]
	s_cbranch_execz .LBB25_48
; %bb.50:                               ;   in Loop: Header=BB25_49 Depth=2
	s_mov_b64 s[56:57], 0
	v_mov_b32_e32 v7, v3
	v_mov_b32_e32 v8, v19
	s_branch .LBB25_52
.LBB25_51:                              ;   in Loop: Header=BB25_52 Depth=3
	v_ashrrev_i32_e32 v5, 31, v4
	v_lshlrev_b64 v[4:5], 4, v[4:5]
	ds_read2_b64 v[30:33], v7 offset1:1
	v_mov_b32_e32 v9, s25
	v_add_co_u32_e32 v4, vcc, s24, v4
	v_addc_co_u32_e32 v5, vcc, v9, v5, vcc
	v_add_u32_e32 v8, 2, v8
	v_cmp_le_i32_e32 vcc, s19, v8
	s_or_b64 s[56:57], vcc, s[56:57]
	v_add_u32_e32 v7, 0x420, v7
	s_waitcnt lgkmcnt(0)
	global_store_dwordx4 v[4:5], v[30:33], off
	s_andn2_b64 exec, exec, s[56:57]
	s_cbranch_execz .LBB25_48
.LBB25_52:                              ;   Parent Loop BB25_12 Depth=1
                                        ;     Parent Loop BB25_49 Depth=2
                                        ; =>    This Inner Loop Header: Depth=3
	s_and_b64 vcc, exec, s[48:49]
	s_cbranch_vccz .LBB25_54
; %bb.53:                               ;   in Loop: Header=BB25_52 Depth=3
	v_add_u32_e32 v4, s61, v8
	v_mad_u64_u32 v[4:5], s[58:59], v4, s19, v[2:3]
	s_cbranch_execnz .LBB25_51
	s_branch .LBB25_55
.LBB25_54:                              ;   in Loop: Header=BB25_52 Depth=3
                                        ; implicit-def: $vgpr4
.LBB25_55:                              ;   in Loop: Header=BB25_52 Depth=3
	v_add_u32_e32 v4, v6, v8
	s_branch .LBB25_51
.LBB25_56:                              ;   in Loop: Header=BB25_12 Depth=1
	s_or_b64 exec, exec, s[4:5]
	s_sub_i32 s66, s60, s18
	s_add_i32 s4, s47, 1
	s_cmp_ge_i32 s4, s66
	s_cbranch_scc1 .LBB25_11
; %bb.57:                               ;   in Loop: Header=BB25_12 Depth=1
	s_mul_i32 s5, s19, s4
	v_add_u32_e32 v2, s5, v18
	v_mul_lo_u32 v16, s19, v2
	s_branch .LBB25_61
.LBB25_58:                              ;   in Loop: Header=BB25_61 Depth=2
	s_or_b64 exec, exec, s[54:55]
.LBB25_59:                              ;   in Loop: Header=BB25_61 Depth=2
	s_or_b64 exec, exec, s[52:53]
.LBB25_60:                              ;   in Loop: Header=BB25_61 Depth=2
	s_add_i32 s4, s4, 1
	s_cmp_lt_i32 s4, s66
	v_add_u32_e32 v16, s64, v16
	s_waitcnt lgkmcnt(0)
	s_cbranch_scc0 .LBB25_11
.LBB25_61:                              ;   Parent Loop BB25_12 Depth=1
                                        ; =>  This Loop Header: Depth=2
                                        ;       Child Loop BB25_66 Depth 3
                                        ;       Child Loop BB25_75 Depth 3
                                        ;         Child Loop BB25_78 Depth 4
                                        ;       Child Loop BB25_84 Depth 3
                                        ;         Child Loop BB25_87 Depth 4
                                        ;           Child Loop BB25_88 Depth 5
	s_ashr_i32 s5, s4, 31
	s_lshl_b64 s[52:53], s[4:5], 2
	s_add_u32 s52, s22, s52
	s_addc_u32 s53, s23, s53
	global_load_dword v2, v27, s[52:53]
	v_mov_b32_e32 v3, s33
	s_and_saveexec_b64 s[52:53], s[14:15]
	s_cbranch_execz .LBB25_63
; %bb.62:                               ;   in Loop: Header=BB25_61 Depth=2
	global_load_dword v3, v[14:15], off
	s_waitcnt vmcnt(0)
	v_subrev_u32_e32 v3, s18, v3
.LBB25_63:                              ;   in Loop: Header=BB25_61 Depth=2
	s_or_b64 exec, exec, s[52:53]
	s_waitcnt vmcnt(0)
	v_subrev_u32_e32 v4, s18, v2
	v_cmp_lt_i32_e32 vcc, v3, v4
	v_mov_b32_e32 v5, v12
	s_and_saveexec_b64 s[52:53], vcc
	s_cbranch_execz .LBB25_69
; %bb.64:                               ;   in Loop: Header=BB25_61 Depth=2
	s_mov_b64 s[54:55], 0
	v_mov_b32_e32 v2, v12
	s_branch .LBB25_66
.LBB25_65:                              ;   in Loop: Header=BB25_66 Depth=3
	s_or_b64 exec, exec, s[56:57]
	v_cmp_ge_i32_e32 vcc, v3, v4
	s_or_b64 s[54:55], vcc, s[54:55]
	v_mov_b32_e32 v2, v5
	s_andn2_b64 exec, exec, s[54:55]
	s_cbranch_execz .LBB25_68
.LBB25_66:                              ;   Parent Loop BB25_12 Depth=1
                                        ;     Parent Loop BB25_61 Depth=2
                                        ; =>    This Inner Loop Header: Depth=3
	v_add_u32_e32 v5, 64, v2
	v_cmp_gt_i32_e32 vcc, s31, v5
	v_mov_b32_e32 v3, s33
	s_and_saveexec_b64 s[56:57], vcc
	s_cbranch_execz .LBB25_65
; %bb.67:                               ;   in Loop: Header=BB25_66 Depth=3
	v_ashrrev_i32_e32 v3, 31, v2
	v_lshlrev_b64 v[2:3], 2, v[2:3]
	v_mov_b32_e32 v6, s63
	v_add_co_u32_e32 v2, vcc, s62, v2
	v_addc_co_u32_e32 v3, vcc, v6, v3, vcc
	global_load_dword v2, v[2:3], off
	s_waitcnt vmcnt(0)
	v_subrev_u32_e32 v3, s18, v2
	s_branch .LBB25_65
.LBB25_68:                              ;   in Loop: Header=BB25_61 Depth=2
	s_or_b64 exec, exec, s[54:55]
.LBB25_69:                              ;   in Loop: Header=BB25_61 Depth=2
	s_or_b64 exec, exec, s[52:53]
	v_cmp_eq_u32_e32 vcc, v3, v4
	s_cbranch_vccz .LBB25_60
; %bb.70:                               ;   in Loop: Header=BB25_61 Depth=2
	s_ff1_i32_b64 s5, vcc
	v_and_or_b32 v2, v28, 64, s5
	v_lshlrev_b32_e32 v2, 2, v2
	ds_bpermute_b32 v3, v2, v5
	s_and_saveexec_b64 s[52:53], s[8:9]
	s_xor_b64 s[52:53], exec, s[52:53]
	s_cbranch_execz .LBB25_72
; %bb.71:                               ;   in Loop: Header=BB25_61 Depth=2
	s_waitcnt lgkmcnt(0)
                                        ; implicit-def: $vgpr3
.LBB25_72:                              ;   in Loop: Header=BB25_61 Depth=2
	s_andn2_saveexec_b64 s[52:53], s[52:53]
	s_cbranch_execz .LBB25_59
; %bb.73:                               ;   in Loop: Header=BB25_61 Depth=2
	s_mul_i32 s5, s4, s19
	s_mov_b64 s[54:55], 0
	v_mov_b32_e32 v6, v22
	v_mov_b32_e32 v7, v16
	;; [unrolled: 1-line block ×3, first 2 shown]
	s_branch .LBB25_75
.LBB25_74:                              ;   in Loop: Header=BB25_75 Depth=3
	s_or_b64 exec, exec, s[56:57]
	v_add_u32_e32 v2, 32, v2
	v_cmp_le_i32_e32 vcc, s19, v2
	v_add_u32_e32 v7, s65, v7
	s_or_b64 s[54:55], vcc, s[54:55]
	v_add_u32_e32 v6, 0x200, v6
	s_andn2_b64 exec, exec, s[54:55]
	s_cbranch_execz .LBB25_82
.LBB25_75:                              ;   Parent Loop BB25_12 Depth=1
                                        ;     Parent Loop BB25_61 Depth=2
                                        ; =>    This Loop Header: Depth=3
                                        ;         Child Loop BB25_78 Depth 4
	s_and_saveexec_b64 s[56:57], s[10:11]
	s_cbranch_execz .LBB25_74
; %bb.76:                               ;   in Loop: Header=BB25_75 Depth=3
	s_mov_b64 s[58:59], 0
	v_mov_b32_e32 v8, v6
	v_mov_b32_e32 v9, v19
	s_branch .LBB25_78
.LBB25_77:                              ;   in Loop: Header=BB25_78 Depth=4
	v_ashrrev_i32_e32 v5, 31, v4
	v_lshlrev_b64 v[4:5], 4, v[4:5]
	v_mov_b32_e32 v17, s25
	v_add_co_u32_e32 v4, vcc, s24, v4
	v_addc_co_u32_e32 v5, vcc, v17, v5, vcc
	global_load_dwordx4 v[30:33], v[4:5], off
	v_add_u32_e32 v9, 2, v9
	v_cmp_le_i32_e32 vcc, s19, v9
	s_or_b64 s[58:59], vcc, s[58:59]
	s_waitcnt vmcnt(0)
	ds_write2_b64 v8, v[30:31], v[32:33] offset1:1
	v_add_u32_e32 v8, 0x420, v8
	s_andn2_b64 exec, exec, s[58:59]
	s_cbranch_execz .LBB25_74
.LBB25_78:                              ;   Parent Loop BB25_12 Depth=1
                                        ;     Parent Loop BB25_61 Depth=2
                                        ;       Parent Loop BB25_75 Depth=3
                                        ; =>      This Inner Loop Header: Depth=4
	s_and_b64 vcc, exec, s[48:49]
	s_cbranch_vccz .LBB25_80
; %bb.79:                               ;   in Loop: Header=BB25_78 Depth=4
	v_add_u32_e32 v4, s5, v9
	s_waitcnt lgkmcnt(0)
	v_mad_u64_u32 v[4:5], s[60:61], v4, s19, v[2:3]
	s_cbranch_execnz .LBB25_77
	s_branch .LBB25_81
.LBB25_80:                              ;   in Loop: Header=BB25_78 Depth=4
                                        ; implicit-def: $vgpr4
.LBB25_81:                              ;   in Loop: Header=BB25_78 Depth=4
	v_add_u32_e32 v4, v7, v9
	s_branch .LBB25_77
.LBB25_82:                              ;   in Loop: Header=BB25_61 Depth=2
	s_or_b64 exec, exec, s[54:55]
	s_waitcnt lgkmcnt(0)
	v_mul_lo_u32 v3, v3, s19
	s_mov_b64 s[54:55], 0
	v_mov_b32_e32 v17, v26
	v_mov_b32_e32 v2, v18
	s_branch .LBB25_84
.LBB25_83:                              ;   in Loop: Header=BB25_84 Depth=3
	s_or_b64 exec, exec, s[56:57]
	v_add_u32_e32 v2, 32, v2
	v_cmp_le_i32_e32 vcc, s19, v2
	s_or_b64 s[54:55], vcc, s[54:55]
	v_add_u32_e32 v17, 0x200, v17
	s_andn2_b64 exec, exec, s[54:55]
	s_cbranch_execz .LBB25_58
.LBB25_84:                              ;   Parent Loop BB25_12 Depth=1
                                        ;     Parent Loop BB25_61 Depth=2
                                        ; =>    This Loop Header: Depth=3
                                        ;         Child Loop BB25_87 Depth 4
                                        ;           Child Loop BB25_88 Depth 5
	s_and_saveexec_b64 s[56:57], s[10:11]
	s_cbranch_execz .LBB25_83
; %bb.85:                               ;   in Loop: Header=BB25_84 Depth=3
	v_add_u32_e32 v4, v2, v3
	v_mul_lo_u32 v29, v4, s19
	s_mov_b64 s[58:59], 0
	v_mov_b32_e32 v30, v21
	v_mov_b32_e32 v31, v19
	s_branch .LBB25_87
.LBB25_86:                              ;   in Loop: Header=BB25_87 Depth=4
	v_ashrrev_i32_e32 v9, 31, v8
	v_lshlrev_b64 v[8:9], 4, v[8:9]
	v_mov_b32_e32 v32, s25
	v_add_co_u32_e32 v8, vcc, s24, v8
	v_addc_co_u32_e32 v9, vcc, v32, v9, vcc
	global_load_dwordx4 v[32:35], v[8:9], off
	v_add_u32_e32 v31, 2, v31
	v_cmp_le_i32_e32 vcc, s19, v31
	s_or_b64 s[58:59], vcc, s[58:59]
	v_add_u32_e32 v30, 0x420, v30
	s_waitcnt vmcnt(0)
	v_add_f64 v[4:5], v[32:33], -v[4:5]
	v_add_f64 v[6:7], v[34:35], -v[6:7]
	global_store_dwordx4 v[8:9], v[4:7], off
	s_andn2_b64 exec, exec, s[58:59]
	s_cbranch_execz .LBB25_83
.LBB25_87:                              ;   Parent Loop BB25_12 Depth=1
                                        ;     Parent Loop BB25_61 Depth=2
                                        ;       Parent Loop BB25_84 Depth=3
                                        ; =>      This Loop Header: Depth=4
                                        ;           Child Loop BB25_88 Depth 5
	v_pk_mov_b32 v[4:5], 0, 0
	v_mov_b32_e32 v8, v17
	v_mov_b32_e32 v9, v30
	s_mov_b32 s5, s19
	v_pk_mov_b32 v[6:7], v[4:5], v[4:5] op_sel:[0,1]
.LBB25_88:                              ;   Parent Loop BB25_12 Depth=1
                                        ;     Parent Loop BB25_61 Depth=2
                                        ;       Parent Loop BB25_84 Depth=3
                                        ;         Parent Loop BB25_87 Depth=4
                                        ; =>        This Inner Loop Header: Depth=5
	ds_read_b128 v[32:35], v8
	ds_read_b128 v[36:39], v9
	s_add_i32 s5, s5, -1
	v_add_u32_e32 v9, 16, v9
	v_add_u32_e32 v8, 0x210, v8
	s_cmp_eq_u32 s5, 0
	s_waitcnt lgkmcnt(0)
	v_fmac_f64_e32 v[4:5], v[32:33], v[36:37]
	v_fmac_f64_e32 v[6:7], v[34:35], v[36:37]
	v_fma_f64 v[4:5], -v[34:35], v[38:39], v[4:5]
	v_fmac_f64_e32 v[6:7], v[32:33], v[38:39]
	s_cbranch_scc0 .LBB25_88
; %bb.89:                               ;   in Loop: Header=BB25_87 Depth=4
	s_and_b64 vcc, exec, s[48:49]
	s_cbranch_vccz .LBB25_91
; %bb.90:                               ;   in Loop: Header=BB25_87 Depth=4
	v_add_u32_e32 v8, v31, v3
	v_mad_u64_u32 v[8:9], s[60:61], v8, s19, v[2:3]
	s_cbranch_execnz .LBB25_86
	s_branch .LBB25_92
.LBB25_91:                              ;   in Loop: Header=BB25_87 Depth=4
                                        ; implicit-def: $vgpr8
.LBB25_92:                              ;   in Loop: Header=BB25_87 Depth=4
	v_add_u32_e32 v8, v31, v29
	s_branch .LBB25_86
.LBB25_93:
	s_ashr_i32 s41, s40, 31
	s_lshl_b64 s[4:5], s[40:41], 2
	s_add_u32 s4, s22, s4
	s_addc_u32 s5, s23, s5
	v_mov_b32_e32 v2, 0
	global_load_dword v2, v2, s[4:5]
	s_waitcnt vmcnt(0)
	v_subrev_u32_e32 v2, s18, v2
	v_cmp_ne_u32_e32 vcc, s30, v2
	s_cbranch_vccnz .LBB25_105
; %bb.94:
	v_and_b32_e32 v6, 0x3ff, v0
	v_cmp_gt_i32_e64 s[6:7], s19, v6
	v_lshlrev_b32_e32 v7, 4, v6
	s_and_saveexec_b64 s[8:9], s[6:7]
	s_cbranch_execz .LBB25_106
; %bb.95:
	s_mul_i32 s26, s40, s19
	v_add_u32_e32 v2, s26, v6
	v_bfe_u32 v3, v0, 10, 10
	s_cmp_lg_u32 s42, 0
	v_mul_lo_u32 v8, s19, v2
	v_lshlrev_b32_e32 v2, 4, v6
	s_movk_i32 s12, 0x210
	v_cmp_gt_u32_e64 s[4:5], s19, v3
	s_cselect_b64 s[10:11], -1, 0
	s_lshl_b32 s27, s19, 5
	v_mad_u32_u24 v9, v3, s12, v2
	s_mov_b64 s[12:13], 0
	v_mov_b32_e32 v2, v6
	s_branch .LBB25_97
.LBB25_96:                              ;   in Loop: Header=BB25_97 Depth=1
	s_or_b64 exec, exec, s[14:15]
	v_add_u32_e32 v2, 32, v2
	v_cmp_le_i32_e32 vcc, s19, v2
	v_add_u32_e32 v8, s27, v8
	s_or_b64 s[12:13], vcc, s[12:13]
	v_add_u32_e32 v9, 0x200, v9
	s_andn2_b64 exec, exec, s[12:13]
	s_cbranch_execz .LBB25_106
.LBB25_97:                              ; =>This Loop Header: Depth=1
                                        ;     Child Loop BB25_100 Depth 2
	s_and_saveexec_b64 s[14:15], s[4:5]
	s_cbranch_execz .LBB25_96
; %bb.98:                               ;   in Loop: Header=BB25_97 Depth=1
	s_mov_b64 s[20:21], 0
	v_mov_b32_e32 v12, v9
	v_mov_b32_e32 v13, v3
	s_branch .LBB25_100
.LBB25_99:                              ;   in Loop: Header=BB25_100 Depth=2
	v_ashrrev_i32_e32 v5, 31, v4
	v_lshlrev_b64 v[4:5], 4, v[4:5]
	v_mov_b32_e32 v14, s25
	v_add_co_u32_e32 v4, vcc, s24, v4
	v_addc_co_u32_e32 v5, vcc, v14, v5, vcc
	global_load_dwordx4 v[14:17], v[4:5], off
	v_add_u32_e32 v13, 2, v13
	v_cmp_le_i32_e32 vcc, s19, v13
	s_or_b64 s[20:21], vcc, s[20:21]
	s_waitcnt vmcnt(0)
	ds_write2_b64 v12, v[14:15], v[16:17] offset1:1
	v_add_u32_e32 v12, 0x420, v12
	s_andn2_b64 exec, exec, s[20:21]
	s_cbranch_execz .LBB25_96
.LBB25_100:                             ;   Parent Loop BB25_97 Depth=1
                                        ; =>  This Inner Loop Header: Depth=2
	s_and_b64 vcc, exec, s[10:11]
	s_cbranch_vccz .LBB25_102
; %bb.101:                              ;   in Loop: Header=BB25_100 Depth=2
	v_add_u32_e32 v4, s26, v13
	v_mad_u64_u32 v[4:5], s[22:23], v4, s19, v[2:3]
	s_cbranch_execnz .LBB25_99
	s_branch .LBB25_103
.LBB25_102:                             ;   in Loop: Header=BB25_100 Depth=2
                                        ; implicit-def: $vgpr4
.LBB25_103:                             ;   in Loop: Header=BB25_100 Depth=2
	v_add_u32_e32 v4, v8, v13
	s_branch .LBB25_99
.LBB25_104:
	s_mov_b64 s[14:15], -1
	s_branch .LBB25_177
.LBB25_105:
	s_mov_b64 s[14:15], s[44:45]
	s_add_i32 s33, s40, 1
	s_cmp_ge_i32 s33, s31
	s_cbranch_scc0 .LBB25_145
	s_branch .LBB25_177
.LBB25_106:
	s_or_b64 exec, exec, s[8:9]
	s_cmp_lt_i32 s19, 1
	s_waitcnt lgkmcnt(0)
	s_cbranch_scc1 .LBB25_134
; %bb.107:
	s_cmp_eq_u64 s[36:37], 8
	v_cvt_f64_f32_e32 v[2:3], v1
	s_cselect_b64 vcc, -1, 0
	v_bfe_u32 v1, v0, 10, 10
	v_cndmask_b32_e32 v8, v2, v10, vcc
	v_or_b32_e32 v2, v6, v1
	s_movk_i32 s33, 0x210
	s_mov_b32 s22, 0
	v_cndmask_b32_e32 v9, v3, v11, vcc
	v_cmp_eq_u32_e64 s[8:9], 0, v2
	v_cmp_eq_u32_e64 s[10:11], 0, v1
	v_mad_u32_u24 v10, v1, s33, s33
	s_mov_b64 s[20:21], 0
	v_mov_b32_e32 v21, 0
	s_brev_b32 s23, 8
	v_mov_b32_e32 v11, 0x260
	v_mov_b32_e32 v18, 0
	;; [unrolled: 1-line block ×3, first 2 shown]
	s_movk_i32 s41, 0x220
	v_mov_b32_e32 v20, 0xffffff80
                                        ; implicit-def: $sgpr14_sgpr15
	s_branch .LBB25_109
.LBB25_108:                             ;   in Loop: Header=BB25_109 Depth=1
	s_or_b64 exec, exec, s[12:13]
	v_cmp_eq_u32_e32 vcc, s19, v14
	s_or_b64 s[20:21], vcc, s[20:21]
	s_andn2_b64 s[4:5], s[14:15], exec
	s_and_b64 s[12:13], s[44:45], exec
	s_or_b64 s[14:15], s[4:5], s[12:13]
	v_mov_b32_e32 v21, v14
	s_andn2_b64 exec, exec, s[20:21]
	s_cbranch_execz .LBB25_133
.LBB25_109:                             ; =>This Loop Header: Depth=1
                                        ;     Child Loop BB25_126 Depth 2
                                        ;       Child Loop BB25_130 Depth 3
	v_mul_lo_u32 v22, v21, s33
	v_lshl_add_u32 v23, v21, 4, v22
	ds_read2_b64 v[2:5], v23 offset1:1
	s_mov_b64 s[26:27], -1
	s_and_b64 vcc, exec, s[16:17]
	s_mov_b64 s[12:13], 0
	s_waitcnt lgkmcnt(0)
	buffer_store_dword v5, off, s[0:3], 0 offset:28
	buffer_store_dword v4, off, s[0:3], 0 offset:24
	;; [unrolled: 1-line block ×4, first 2 shown]
	s_cbranch_vccz .LBB25_113
; %bb.110:                              ;   in Loop: Header=BB25_109 Depth=1
	s_mov_b64 s[4:5], 0
	s_and_b64 vcc, exec, s[26:27]
	s_cbranch_vccnz .LBB25_122
.LBB25_111:                             ;   in Loop: Header=BB25_109 Depth=1
                                        ; implicit-def: $vgpr14
	s_and_saveexec_b64 s[26:27], s[12:13]
	s_xor_b64 s[26:27], exec, s[26:27]
	s_cbranch_execnz .LBB25_123
.LBB25_112:                             ;   in Loop: Header=BB25_109 Depth=1
	s_or_b64 exec, exec, s[26:27]
	s_and_saveexec_b64 s[12:13], s[4:5]
	s_cbranch_execz .LBB25_108
	s_branch .LBB25_132
.LBB25_113:                             ;   in Loop: Header=BB25_109 Depth=1
	v_xor_b32_e32 v12, 0x80000000, v3
	v_cmp_gt_f64_e32 vcc, 0, v[2:3]
	v_cndmask_b32_e32 v13, v3, v12, vcc
	v_cndmask_b32_e32 v12, v2, v2, vcc
	v_xor_b32_e32 v14, 0x80000000, v5
	v_cmp_gt_f64_e32 vcc, 0, v[4:5]
	v_cndmask_b32_e32 v15, v5, v14, vcc
	v_cndmask_b32_e32 v14, v4, v4, vcc
	v_cmp_ngt_f64_e32 vcc, v[12:13], v[14:15]
                                        ; implicit-def: $vgpr16_vgpr17
	s_and_saveexec_b64 s[4:5], vcc
	s_xor_b64 s[4:5], exec, s[4:5]
	s_cbranch_execz .LBB25_117
; %bb.114:                              ;   in Loop: Header=BB25_109 Depth=1
	v_cmp_neq_f64_e32 vcc, 0, v[4:5]
	v_pk_mov_b32 v[16:17], 0, 0
	s_and_saveexec_b64 s[12:13], vcc
	s_cbranch_execz .LBB25_116
; %bb.115:                              ;   in Loop: Header=BB25_109 Depth=1
	v_div_scale_f64 v[16:17], s[26:27], v[14:15], v[14:15], v[12:13]
	v_rcp_f64_e32 v[24:25], v[16:17]
	v_div_scale_f64 v[26:27], vcc, v[12:13], v[14:15], v[12:13]
	v_fma_f64 v[28:29], -v[16:17], v[24:25], 1.0
	v_fmac_f64_e32 v[24:25], v[24:25], v[28:29]
	v_fma_f64 v[28:29], -v[16:17], v[24:25], 1.0
	v_fmac_f64_e32 v[24:25], v[24:25], v[28:29]
	v_mul_f64 v[28:29], v[26:27], v[24:25]
	v_fma_f64 v[16:17], -v[16:17], v[28:29], v[26:27]
	v_div_fmas_f64 v[16:17], v[16:17], v[24:25], v[28:29]
	v_div_fixup_f64 v[12:13], v[16:17], v[14:15], v[12:13]
	v_fma_f64 v[12:13], v[12:13], v[12:13], 1.0
	v_cmp_gt_f64_e32 vcc, s[22:23], v[12:13]
	v_cndmask_b32_e64 v16, 0, 1, vcc
	v_lshlrev_b32_e32 v16, 8, v16
	v_ldexp_f64 v[12:13], v[12:13], v16
	v_rsq_f64_e32 v[16:17], v[12:13]
	v_mul_f64 v[24:25], v[12:13], v[16:17]
	v_mul_f64 v[16:17], v[16:17], 0.5
	v_fma_f64 v[26:27], -v[16:17], v[24:25], 0.5
	v_fmac_f64_e32 v[24:25], v[24:25], v[26:27]
	v_fma_f64 v[28:29], -v[24:25], v[24:25], v[12:13]
	v_fmac_f64_e32 v[16:17], v[16:17], v[26:27]
	v_fmac_f64_e32 v[24:25], v[28:29], v[16:17]
	v_fma_f64 v[26:27], -v[24:25], v[24:25], v[12:13]
	v_fmac_f64_e32 v[24:25], v[26:27], v[16:17]
	v_cndmask_b32_e32 v16, 0, v20, vcc
	v_ldexp_f64 v[16:17], v[24:25], v16
	v_cmp_class_f64_e32 vcc, v[12:13], v11
	v_cndmask_b32_e32 v13, v17, v13, vcc
	v_cndmask_b32_e32 v12, v16, v12, vcc
	v_mul_f64 v[16:17], v[14:15], v[12:13]
.LBB25_116:                             ;   in Loop: Header=BB25_109 Depth=1
	s_or_b64 exec, exec, s[12:13]
                                        ; implicit-def: $vgpr12_vgpr13
                                        ; implicit-def: $vgpr14_vgpr15
.LBB25_117:                             ;   in Loop: Header=BB25_109 Depth=1
	s_andn2_saveexec_b64 s[4:5], s[4:5]
	s_cbranch_execz .LBB25_119
; %bb.118:                              ;   in Loop: Header=BB25_109 Depth=1
	v_div_scale_f64 v[16:17], s[12:13], v[12:13], v[12:13], v[14:15]
	v_rcp_f64_e32 v[24:25], v[16:17]
	v_div_scale_f64 v[26:27], vcc, v[14:15], v[12:13], v[14:15]
	v_fma_f64 v[28:29], -v[16:17], v[24:25], 1.0
	v_fmac_f64_e32 v[24:25], v[24:25], v[28:29]
	v_fma_f64 v[28:29], -v[16:17], v[24:25], 1.0
	v_fmac_f64_e32 v[24:25], v[24:25], v[28:29]
	v_mul_f64 v[28:29], v[26:27], v[24:25]
	v_fma_f64 v[16:17], -v[16:17], v[28:29], v[26:27]
	v_div_fmas_f64 v[16:17], v[16:17], v[24:25], v[28:29]
	v_div_fixup_f64 v[14:15], v[16:17], v[12:13], v[14:15]
	v_fma_f64 v[14:15], v[14:15], v[14:15], 1.0
	v_cmp_gt_f64_e32 vcc, s[22:23], v[14:15]
	v_cndmask_b32_e64 v16, 0, 1, vcc
	v_lshlrev_b32_e32 v16, 8, v16
	v_ldexp_f64 v[14:15], v[14:15], v16
	v_rsq_f64_e32 v[16:17], v[14:15]
	v_mul_f64 v[24:25], v[14:15], v[16:17]
	v_mul_f64 v[16:17], v[16:17], 0.5
	v_fma_f64 v[26:27], -v[16:17], v[24:25], 0.5
	v_fmac_f64_e32 v[24:25], v[24:25], v[26:27]
	v_fma_f64 v[28:29], -v[24:25], v[24:25], v[14:15]
	v_fmac_f64_e32 v[16:17], v[16:17], v[26:27]
	v_fmac_f64_e32 v[24:25], v[28:29], v[16:17]
	v_fma_f64 v[26:27], -v[24:25], v[24:25], v[14:15]
	v_fmac_f64_e32 v[24:25], v[26:27], v[16:17]
	v_cndmask_b32_e32 v16, 0, v20, vcc
	v_ldexp_f64 v[16:17], v[24:25], v16
	v_cmp_class_f64_e32 vcc, v[14:15], v11
	v_cndmask_b32_e32 v15, v17, v15, vcc
	v_cndmask_b32_e32 v14, v16, v14, vcc
	v_mul_f64 v[16:17], v[12:13], v[14:15]
.LBB25_119:                             ;   in Loop: Header=BB25_109 Depth=1
	s_or_b64 exec, exec, s[4:5]
	v_cmp_le_f64_e32 vcc, v[16:17], v[8:9]
	v_cndmask_b32_e32 v12, v19, v18, vcc
	buffer_load_dword v13, v12, s[0:3], 0 offen
	buffer_load_dword v14, v12, s[0:3], 0 offen offset:4
	buffer_load_dword v15, v12, s[0:3], 0 offen offset:8
	;; [unrolled: 1-line block ×3, first 2 shown]
	s_waitcnt vmcnt(3)
	buffer_store_dword v13, off, s[0:3], 0 offset:16
	s_waitcnt vmcnt(3)
	buffer_store_dword v14, off, s[0:3], 0 offset:20
	;; [unrolled: 2-line block ×4, first 2 shown]
	s_and_saveexec_b64 s[4:5], s[8:9]
	s_cbranch_execz .LBB25_121
; %bb.120:                              ;   in Loop: Header=BB25_109 Depth=1
	buffer_load_dword v12, off, s[0:3], 0 offset:16
	buffer_load_dword v13, off, s[0:3], 0 offset:20
	;; [unrolled: 1-line block ×4, first 2 shown]
	s_waitcnt vmcnt(0)
	ds_write2_b64 v23, v[12:13], v[14:15] offset1:1
.LBB25_121:                             ;   in Loop: Header=BB25_109 Depth=1
	s_or_b64 exec, exec, s[4:5]
	s_mov_b64 s[12:13], -1
	s_mov_b64 s[4:5], 0
	s_branch .LBB25_111
.LBB25_122:                             ;   in Loop: Header=BB25_109 Depth=1
	v_cmp_neq_f64_e32 vcc, 0, v[2:3]
	v_cmp_neq_f64_e64 s[4:5], 0, v[4:5]
	s_or_b64 s[26:27], vcc, s[4:5]
	s_andn2_b64 s[12:13], s[12:13], exec
	s_and_b64 s[26:27], s[26:27], exec
	s_mov_b64 s[4:5], -1
	s_or_b64 s[12:13], s[12:13], s[26:27]
                                        ; implicit-def: $vgpr14
	s_and_saveexec_b64 s[26:27], s[12:13]
	s_xor_b64 s[26:27], exec, s[26:27]
	s_cbranch_execz .LBB25_112
.LBB25_123:                             ;   in Loop: Header=BB25_109 Depth=1
	v_add_u32_e32 v14, 1, v21
	v_add_u32_e32 v15, v14, v6
	v_cmp_gt_i32_e32 vcc, s19, v15
	s_and_saveexec_b64 s[36:37], vcc
	s_cbranch_execz .LBB25_131
; %bb.124:                              ;   in Loop: Header=BB25_109 Depth=1
	v_add_u32_e32 v16, v14, v1
	v_mad_u64_u32 v[12:13], s[46:47], v21, s41, v[10:11]
	v_cmp_gt_i32_e64 s[12:13], s19, v16
	s_mov_b64 s[46:47], 0
	v_mov_b32_e32 v13, v7
	s_branch .LBB25_126
.LBB25_125:                             ;   in Loop: Header=BB25_126 Depth=2
	s_or_b64 exec, exec, s[48:49]
	v_add_u32_e32 v15, 32, v15
	v_cmp_le_i32_e32 vcc, s19, v15
	s_or_b64 s[46:47], vcc, s[46:47]
	v_add_u32_e32 v13, 0x200, v13
	s_andn2_b64 exec, exec, s[46:47]
	s_cbranch_execz .LBB25_131
.LBB25_126:                             ;   Parent Loop BB25_109 Depth=1
                                        ; =>  This Loop Header: Depth=2
                                        ;       Child Loop BB25_130 Depth 3
	buffer_load_dword v24, off, s[0:3], 0 offset:24
	buffer_load_dword v25, off, s[0:3], 0 offset:28
	;; [unrolled: 1-line block ×4, first 2 shown]
	v_lshl_add_u32 v17, v15, 4, v22
	ds_read_b128 v[2:5], v17
	s_waitcnt vmcnt(2) lgkmcnt(0)
	v_mul_f64 v[28:29], v[24:25], v[24:25]
	v_mul_f64 v[30:31], v[4:5], v[24:25]
	s_waitcnt vmcnt(0)
	v_fmac_f64_e32 v[28:29], v[26:27], v[26:27]
	v_mul_f64 v[24:25], v[24:25], -v[2:3]
	v_fmac_f64_e32 v[30:31], v[2:3], v[26:27]
	v_div_scale_f64 v[2:3], s[48:49], v[28:29], v[28:29], 1.0
	v_rcp_f64_e32 v[32:33], v[2:3]
	v_fmac_f64_e32 v[24:25], v[4:5], v[26:27]
	v_div_scale_f64 v[4:5], vcc, 1.0, v[28:29], 1.0
	v_fma_f64 v[26:27], -v[2:3], v[32:33], 1.0
	v_fmac_f64_e32 v[32:33], v[32:33], v[26:27]
	v_fma_f64 v[26:27], -v[2:3], v[32:33], 1.0
	v_fmac_f64_e32 v[32:33], v[32:33], v[26:27]
	v_mul_f64 v[26:27], v[4:5], v[32:33]
	v_fma_f64 v[2:3], -v[2:3], v[26:27], v[4:5]
	v_div_fmas_f64 v[2:3], v[2:3], v[32:33], v[26:27]
	v_div_fixup_f64 v[4:5], v[2:3], v[28:29], 1.0
	v_mul_f64 v[2:3], v[30:31], v[4:5]
	v_mul_f64 v[4:5], v[24:25], v[4:5]
	s_and_saveexec_b64 s[48:49], s[10:11]
	s_cbranch_execz .LBB25_128
; %bb.127:                              ;   in Loop: Header=BB25_126 Depth=2
	ds_write_b128 v17, v[2:5]
.LBB25_128:                             ;   in Loop: Header=BB25_126 Depth=2
	s_or_b64 exec, exec, s[48:49]
	s_and_saveexec_b64 s[48:49], s[12:13]
	s_cbranch_execz .LBB25_125
; %bb.129:                              ;   in Loop: Header=BB25_126 Depth=2
	s_mov_b64 s[50:51], 0
	v_mov_b32_e32 v17, v12
	v_mov_b32_e32 v23, v16
.LBB25_130:                             ;   Parent Loop BB25_109 Depth=1
                                        ;     Parent Loop BB25_126 Depth=2
                                        ; =>    This Inner Loop Header: Depth=3
	v_add_u32_e32 v32, v17, v13
	ds_read_b128 v[24:27], v17
	ds_read_b128 v[28:31], v32 offset:16
	v_add_u32_e32 v23, 2, v23
	v_cmp_le_i32_e32 vcc, s19, v23
	v_add_u32_e32 v17, 0x420, v17
	s_or_b64 s[50:51], vcc, s[50:51]
	s_waitcnt lgkmcnt(0)
	v_fma_f64 v[28:29], -v[2:3], v[24:25], v[28:29]
	v_fma_f64 v[24:25], -v[4:5], v[24:25], v[30:31]
	v_fmac_f64_e32 v[28:29], v[4:5], v[26:27]
	v_fma_f64 v[30:31], -v[2:3], v[26:27], v[24:25]
	ds_write_b128 v32, v[28:31] offset:16
	s_andn2_b64 exec, exec, s[50:51]
	s_cbranch_execnz .LBB25_130
	s_branch .LBB25_125
.LBB25_131:                             ;   in Loop: Header=BB25_109 Depth=1
	s_or_b64 exec, exec, s[36:37]
	s_and_b64 s[44:45], s[44:45], exec
	s_andn2_b64 s[4:5], s[4:5], exec
	s_or_b64 exec, exec, s[26:27]
	s_and_saveexec_b64 s[12:13], s[4:5]
	s_cbranch_execz .LBB25_108
.LBB25_132:                             ;   in Loop: Header=BB25_109 Depth=1
	v_add_u32_e32 v14, 1, v21
	s_or_b64 s[44:45], s[44:45], exec
	s_branch .LBB25_108
.LBB25_133:
	s_or_b64 exec, exec, s[20:21]
	s_waitcnt lgkmcnt(0)
	s_and_saveexec_b64 s[8:9], s[6:7]
	s_cbranch_execnz .LBB25_135
	s_branch .LBB25_144
.LBB25_134:
	s_mov_b64 s[14:15], s[44:45]
	s_and_saveexec_b64 s[8:9], s[6:7]
	s_cbranch_execz .LBB25_144
.LBB25_135:
	s_mul_i32 s22, s40, s19
	v_bfe_u32 v1, v0, 10, 10
	s_cmp_lg_u32 s42, 0
	v_add_u32_e32 v2, s22, v6
	s_movk_i32 s10, 0x210
	v_cmp_gt_u32_e64 s[4:5], s19, v1
	s_cselect_b64 s[6:7], -1, 0
	v_mul_lo_u32 v4, s19, v2
	s_lshl_b32 s23, s19, 5
	v_mad_u32_u24 v5, v1, s10, v7
	s_mov_b64 s[10:11], 0
	s_branch .LBB25_137
.LBB25_136:                             ;   in Loop: Header=BB25_137 Depth=1
	s_or_b64 exec, exec, s[12:13]
	v_add_u32_e32 v6, 32, v6
	v_cmp_le_i32_e32 vcc, s19, v6
	v_add_u32_e32 v4, s23, v4
	s_or_b64 s[10:11], vcc, s[10:11]
	v_add_u32_e32 v5, 0x200, v5
	s_andn2_b64 exec, exec, s[10:11]
	s_cbranch_execz .LBB25_144
.LBB25_137:                             ; =>This Loop Header: Depth=1
                                        ;     Child Loop BB25_140 Depth 2
	s_and_saveexec_b64 s[12:13], s[4:5]
	s_cbranch_execz .LBB25_136
; %bb.138:                              ;   in Loop: Header=BB25_137 Depth=1
	s_mov_b64 s[16:17], 0
	v_mov_b32_e32 v7, v5
	v_mov_b32_e32 v8, v1
	s_branch .LBB25_140
.LBB25_139:                             ;   in Loop: Header=BB25_140 Depth=2
	v_ashrrev_i32_e32 v3, 31, v2
	v_lshlrev_b64 v[2:3], 4, v[2:3]
	ds_read2_b64 v[10:13], v7 offset1:1
	v_mov_b32_e32 v9, s25
	v_add_co_u32_e32 v2, vcc, s24, v2
	v_addc_co_u32_e32 v3, vcc, v9, v3, vcc
	v_add_u32_e32 v8, 2, v8
	v_cmp_le_i32_e32 vcc, s19, v8
	s_or_b64 s[16:17], vcc, s[16:17]
	v_add_u32_e32 v7, 0x420, v7
	s_waitcnt lgkmcnt(0)
	global_store_dwordx4 v[2:3], v[10:13], off
	s_andn2_b64 exec, exec, s[16:17]
	s_cbranch_execz .LBB25_136
.LBB25_140:                             ;   Parent Loop BB25_137 Depth=1
                                        ; =>  This Inner Loop Header: Depth=2
	s_and_b64 vcc, exec, s[6:7]
	s_cbranch_vccz .LBB25_142
; %bb.141:                              ;   in Loop: Header=BB25_140 Depth=2
	v_add_u32_e32 v2, s22, v8
	v_mad_u64_u32 v[2:3], s[20:21], v2, s19, v[6:7]
	s_cbranch_execnz .LBB25_139
	s_branch .LBB25_143
.LBB25_142:                             ;   in Loop: Header=BB25_140 Depth=2
                                        ; implicit-def: $vgpr2
.LBB25_143:                             ;   in Loop: Header=BB25_140 Depth=2
	v_add_u32_e32 v2, v4, v8
	s_branch .LBB25_139
.LBB25_144:
	s_or_b64 exec, exec, s[8:9]
	s_add_i32 s33, s40, 1
	s_cmp_ge_i32 s33, s31
	s_cbranch_scc1 .LBB25_177
.LBB25_145:
	v_and_b32_e32 v1, 0x3ff, v0
	s_mul_i32 s8, s19, s33
	v_bfe_u32 v3, v0, 10, 10
	s_cmp_lg_u32 s42, 0
	v_add_u32_e32 v2, s8, v1
	s_cselect_b64 s[12:13], -1, 0
	s_cmp_gt_i32 s19, 0
	v_mul_lo_u32 v7, s19, v2
	v_mul_u32_u24_e32 v2, 0x210, v3
	v_lshlrev_b32_e32 v4, 4, v1
	s_movk_i32 s10, 0x4200
	s_cselect_b64 s[8:9], -1, 0
	v_add3_u32 v8, v2, v4, s10
	v_mul_u32_u24_e32 v2, 0x210, v1
	v_lshlrev_b32_e32 v4, 4, v3
	s_movk_i32 s10, 0x4210
	v_add3_u32 v9, v4, v2, s10
	v_cndmask_b32_e64 v2, 0, 1, s[8:9]
	v_cmp_gt_i32_e64 s[4:5], s19, v1
	v_cmp_gt_i32_e64 s[6:7], s19, v3
	v_add_u32_e32 v6, 1, v3
	s_mul_i32 s36, s19, s19
	s_lshl_b32 s37, s19, 5
	s_movk_i32 s40, 0x210
	v_add_u32_e32 v10, 16, v4
	v_cmp_ne_u32_e64 s[8:9], 1, v2
.LBB25_146:                             ; =>This Loop Header: Depth=1
                                        ;     Child Loop BB25_149 Depth 2
                                        ;       Child Loop BB25_152 Depth 3
                                        ;     Child Loop BB25_159 Depth 2
                                        ;       Child Loop BB25_162 Depth 3
                                        ;         Child Loop BB25_164 Depth 4
                                        ;     Child Loop BB25_168 Depth 2
                                        ;       Child Loop BB25_171 Depth 3
	s_mul_i32 s41, s33, s19
	s_waitcnt lgkmcnt(0)
	s_and_saveexec_b64 s[10:11], s[4:5]
	s_cbranch_execz .LBB25_156
; %bb.147:                              ;   in Loop: Header=BB25_146 Depth=1
	s_mov_b64 s[16:17], 0
	v_mov_b32_e32 v11, v8
	v_mov_b32_e32 v12, v7
	;; [unrolled: 1-line block ×3, first 2 shown]
	s_branch .LBB25_149
.LBB25_148:                             ;   in Loop: Header=BB25_149 Depth=2
	s_or_b64 exec, exec, s[20:21]
	v_add_u32_e32 v2, 32, v2
	v_cmp_le_i32_e32 vcc, s19, v2
	v_add_u32_e32 v12, s37, v12
	s_or_b64 s[16:17], vcc, s[16:17]
	v_add_u32_e32 v11, 0x200, v11
	s_andn2_b64 exec, exec, s[16:17]
	s_cbranch_execz .LBB25_156
.LBB25_149:                             ;   Parent Loop BB25_146 Depth=1
                                        ; =>  This Loop Header: Depth=2
                                        ;       Child Loop BB25_152 Depth 3
	s_and_saveexec_b64 s[20:21], s[6:7]
	s_cbranch_execz .LBB25_148
; %bb.150:                              ;   in Loop: Header=BB25_149 Depth=2
	s_mov_b64 s[22:23], 0
	v_mov_b32_e32 v13, v11
	v_mov_b32_e32 v14, v3
	s_branch .LBB25_152
.LBB25_151:                             ;   in Loop: Header=BB25_152 Depth=3
	v_ashrrev_i32_e32 v5, 31, v4
	v_lshlrev_b64 v[4:5], 4, v[4:5]
	v_mov_b32_e32 v15, s25
	v_add_co_u32_e32 v4, vcc, s24, v4
	v_addc_co_u32_e32 v5, vcc, v15, v5, vcc
	global_load_dwordx4 v[16:19], v[4:5], off
	v_add_u32_e32 v14, 2, v14
	v_cmp_le_i32_e32 vcc, s19, v14
	s_or_b64 s[22:23], vcc, s[22:23]
	s_waitcnt vmcnt(0)
	ds_write2_b64 v13, v[16:17], v[18:19] offset1:1
	v_add_u32_e32 v13, 0x420, v13
	s_andn2_b64 exec, exec, s[22:23]
	s_cbranch_execz .LBB25_148
.LBB25_152:                             ;   Parent Loop BB25_146 Depth=1
                                        ;     Parent Loop BB25_149 Depth=2
                                        ; =>    This Inner Loop Header: Depth=3
	s_and_b64 vcc, exec, s[12:13]
	s_cbranch_vccz .LBB25_154
; %bb.153:                              ;   in Loop: Header=BB25_152 Depth=3
	v_add_u32_e32 v4, s41, v14
	v_mad_u64_u32 v[4:5], s[26:27], v4, s19, v[2:3]
	s_cbranch_execnz .LBB25_151
	s_branch .LBB25_155
.LBB25_154:                             ;   in Loop: Header=BB25_152 Depth=3
                                        ; implicit-def: $vgpr4
.LBB25_155:                             ;   in Loop: Header=BB25_152 Depth=3
	v_add_u32_e32 v4, v12, v14
	s_branch .LBB25_151
.LBB25_156:                             ;   in Loop: Header=BB25_146 Depth=1
	s_or_b64 exec, exec, s[10:11]
	s_and_b64 vcc, exec, s[8:9]
	s_waitcnt lgkmcnt(0)
	s_cbranch_vccnz .LBB25_165
; %bb.157:                              ;   in Loop: Header=BB25_146 Depth=1
	s_mov_b32 s42, 0
	v_mov_b32_e32 v2, v10
	v_mov_b32_e32 v4, v9
	s_branch .LBB25_159
.LBB25_158:                             ;   in Loop: Header=BB25_159 Depth=2
	s_or_b64 exec, exec, s[16:17]
	s_add_i32 s42, s42, 1
	v_add_u32_e32 v4, 16, v4
	s_cmp_eq_u32 s42, s19
	v_add_u32_e32 v2, 0x220, v2
	s_cbranch_scc1 .LBB25_165
.LBB25_159:                             ;   Parent Loop BB25_146 Depth=1
                                        ; =>  This Loop Header: Depth=2
                                        ;       Child Loop BB25_162 Depth 3
                                        ;         Child Loop BB25_164 Depth 4
	s_and_saveexec_b64 s[16:17], s[4:5]
	s_cbranch_execz .LBB25_158
; %bb.160:                              ;   in Loop: Header=BB25_159 Depth=2
	v_add_u32_e32 v5, s42, v6
	s_lshl_b32 s43, s42, 4
	v_cmp_gt_i32_e32 vcc, s19, v5
	s_mov_b64 s[20:21], 0
	s_addk_i32 s43, 0x4200
	v_mov_b32_e32 v11, v4
	v_mov_b32_e32 v12, v1
	s_branch .LBB25_162
.LBB25_161:                             ;   in Loop: Header=BB25_162 Depth=3
	s_or_b64 exec, exec, s[22:23]
	v_add_u32_e32 v12, 32, v12
	v_cmp_le_i32_e64 s[10:11], s19, v12
	s_or_b64 s[20:21], s[10:11], s[20:21]
	v_add_u32_e32 v11, 0x4200, v11
	s_andn2_b64 exec, exec, s[20:21]
	s_cbranch_execz .LBB25_158
.LBB25_162:                             ;   Parent Loop BB25_146 Depth=1
                                        ;     Parent Loop BB25_159 Depth=2
                                        ; =>    This Loop Header: Depth=3
                                        ;         Child Loop BB25_164 Depth 4
	s_and_saveexec_b64 s[22:23], vcc
	s_cbranch_execz .LBB25_161
; %bb.163:                              ;   in Loop: Header=BB25_162 Depth=3
	v_mul_lo_u32 v13, v12, s40
	v_add_u32_e32 v13, s43, v13
	s_mov_b64 s[26:27], 0
	v_mov_b32_e32 v14, v2
	v_mov_b32_e32 v15, v11
	;; [unrolled: 1-line block ×3, first 2 shown]
.LBB25_164:                             ;   Parent Loop BB25_146 Depth=1
                                        ;     Parent Loop BB25_159 Depth=2
                                        ;       Parent Loop BB25_162 Depth=3
                                        ; =>      This Inner Loop Header: Depth=4
	ds_read_b128 v[18:21], v14
	ds_read_b128 v[22:25], v13
	;; [unrolled: 1-line block ×3, first 2 shown]
	v_add_u32_e32 v16, 2, v16
	v_cmp_le_i32_e64 s[10:11], s19, v16
	s_or_b64 s[26:27], s[10:11], s[26:27]
	v_add_u32_e32 v14, 32, v14
	s_waitcnt lgkmcnt(0)
	v_fma_f64 v[26:27], -v[18:19], v[22:23], v[26:27]
	v_fma_f64 v[22:23], -v[20:21], v[22:23], v[28:29]
	v_fmac_f64_e32 v[26:27], v[20:21], v[24:25]
	v_fma_f64 v[28:29], -v[18:19], v[24:25], v[22:23]
	ds_write_b128 v15, v[26:29]
	v_add_u32_e32 v15, 32, v15
	s_andn2_b64 exec, exec, s[26:27]
	s_cbranch_execnz .LBB25_164
	s_branch .LBB25_161
.LBB25_165:                             ;   in Loop: Header=BB25_146 Depth=1
	s_waitcnt lgkmcnt(0)
	s_and_saveexec_b64 s[10:11], s[4:5]
	s_cbranch_execz .LBB25_175
; %bb.166:                              ;   in Loop: Header=BB25_146 Depth=1
	s_mov_b64 s[16:17], 0
	v_mov_b32_e32 v11, v8
	v_mov_b32_e32 v12, v7
	;; [unrolled: 1-line block ×3, first 2 shown]
	s_branch .LBB25_168
.LBB25_167:                             ;   in Loop: Header=BB25_168 Depth=2
	s_or_b64 exec, exec, s[20:21]
	v_add_u32_e32 v2, 32, v2
	v_cmp_le_i32_e32 vcc, s19, v2
	v_add_u32_e32 v12, s37, v12
	s_or_b64 s[16:17], vcc, s[16:17]
	v_add_u32_e32 v11, 0x200, v11
	s_andn2_b64 exec, exec, s[16:17]
	s_cbranch_execz .LBB25_175
.LBB25_168:                             ;   Parent Loop BB25_146 Depth=1
                                        ; =>  This Loop Header: Depth=2
                                        ;       Child Loop BB25_171 Depth 3
	s_and_saveexec_b64 s[20:21], s[6:7]
	s_cbranch_execz .LBB25_167
; %bb.169:                              ;   in Loop: Header=BB25_168 Depth=2
	s_mov_b64 s[22:23], 0
	v_mov_b32_e32 v13, v11
	v_mov_b32_e32 v14, v3
	s_branch .LBB25_171
.LBB25_170:                             ;   in Loop: Header=BB25_171 Depth=3
	v_ashrrev_i32_e32 v5, 31, v4
	v_lshlrev_b64 v[4:5], 4, v[4:5]
	ds_read2_b64 v[16:19], v13 offset1:1
	v_mov_b32_e32 v15, s25
	v_add_co_u32_e32 v4, vcc, s24, v4
	v_addc_co_u32_e32 v5, vcc, v15, v5, vcc
	v_add_u32_e32 v14, 2, v14
	v_cmp_le_i32_e32 vcc, s19, v14
	s_or_b64 s[22:23], vcc, s[22:23]
	v_add_u32_e32 v13, 0x420, v13
	s_waitcnt lgkmcnt(0)
	global_store_dwordx4 v[4:5], v[16:19], off
	s_andn2_b64 exec, exec, s[22:23]
	s_cbranch_execz .LBB25_167
.LBB25_171:                             ;   Parent Loop BB25_146 Depth=1
                                        ;     Parent Loop BB25_168 Depth=2
                                        ; =>    This Inner Loop Header: Depth=3
	s_and_b64 vcc, exec, s[12:13]
	s_cbranch_vccz .LBB25_173
; %bb.172:                              ;   in Loop: Header=BB25_171 Depth=3
	v_add_u32_e32 v4, s41, v14
	v_mad_u64_u32 v[4:5], s[26:27], v4, s19, v[2:3]
	s_cbranch_execnz .LBB25_170
	s_branch .LBB25_174
.LBB25_173:                             ;   in Loop: Header=BB25_171 Depth=3
                                        ; implicit-def: $vgpr4
.LBB25_174:                             ;   in Loop: Header=BB25_171 Depth=3
	v_add_u32_e32 v4, v12, v14
	s_branch .LBB25_170
.LBB25_175:                             ;   in Loop: Header=BB25_146 Depth=1
	s_or_b64 exec, exec, s[10:11]
; %bb.176:                              ;   in Loop: Header=BB25_146 Depth=1
	s_add_i32 s33, s33, 1
	s_cmp_ge_i32 s33, s31
	v_add_u32_e32 v7, s36, v7
	s_cbranch_scc0 .LBB25_146
.LBB25_177:
	v_and_b32_e32 v1, 0x3ff, v0
	v_bfe_u32 v0, v0, 10, 10
	v_or_b32_e32 v0, v1, v0
	v_cmp_eq_u32_e32 vcc, 0, v0
	s_and_saveexec_b64 s[4:5], vcc
	s_cbranch_execz .LBB25_181
; %bb.178:
	s_add_u32 s4, s28, s38
	s_addc_u32 s5, s29, s39
	v_mov_b32_e32 v0, 0
	v_mov_b32_e32 v1, 1
	s_waitcnt vmcnt(0)
	global_store_dword v0, v1, s[4:5]
	s_and_b64 exec, exec, s[14:15]
	s_cbranch_execz .LBB25_181
; %bb.179:
	v_mbcnt_lo_u32_b32 v0, exec_lo, 0
	v_mbcnt_hi_u32_b32 v0, exec_hi, v0
	v_cmp_eq_u32_e32 vcc, 0, v0
	s_and_b64 exec, exec, vcc
	s_cbranch_execz .LBB25_181
; %bb.180:
	s_add_i32 s4, s30, s18
	v_mov_b32_e32 v0, 0
	v_mov_b32_e32 v1, s4
	global_atomic_smin v0, v1, s[34:35]
.LBB25_181:
	s_endpgm
	.section	.rodata,"a",@progbits
	.p2align	6, 0x0
	.amdhsa_kernel _ZN9rocsparseL12bsrilu0_9_32ILj64ELj64ELj32E21rocsparse_complex_numIdEEEv20rocsparse_direction_iPKiS5_PT2_S5_iPiS5_S8_21rocsparse_index_base_imNS_24const_host_device_scalarIfEENSA_IdEENSA_IS6_EEb
		.amdhsa_group_segment_fixed_size 33792
		.amdhsa_private_segment_fixed_size 48
		.amdhsa_kernarg_size 124
		.amdhsa_user_sgpr_count 8
		.amdhsa_user_sgpr_private_segment_buffer 1
		.amdhsa_user_sgpr_dispatch_ptr 0
		.amdhsa_user_sgpr_queue_ptr 0
		.amdhsa_user_sgpr_kernarg_segment_ptr 1
		.amdhsa_user_sgpr_dispatch_id 0
		.amdhsa_user_sgpr_flat_scratch_init 1
		.amdhsa_user_sgpr_kernarg_preload_length 0
		.amdhsa_user_sgpr_kernarg_preload_offset 0
		.amdhsa_user_sgpr_private_segment_size 0
		.amdhsa_uses_dynamic_stack 0
		.amdhsa_system_sgpr_private_segment_wavefront_offset 1
		.amdhsa_system_sgpr_workgroup_id_x 1
		.amdhsa_system_sgpr_workgroup_id_y 0
		.amdhsa_system_sgpr_workgroup_id_z 0
		.amdhsa_system_sgpr_workgroup_info 0
		.amdhsa_system_vgpr_workitem_id 1
		.amdhsa_next_free_vgpr 46
		.amdhsa_next_free_sgpr 67
		.amdhsa_accum_offset 48
		.amdhsa_reserve_vcc 1
		.amdhsa_reserve_flat_scratch 1
		.amdhsa_float_round_mode_32 0
		.amdhsa_float_round_mode_16_64 0
		.amdhsa_float_denorm_mode_32 3
		.amdhsa_float_denorm_mode_16_64 3
		.amdhsa_dx10_clamp 1
		.amdhsa_ieee_mode 1
		.amdhsa_fp16_overflow 0
		.amdhsa_tg_split 0
		.amdhsa_exception_fp_ieee_invalid_op 0
		.amdhsa_exception_fp_denorm_src 0
		.amdhsa_exception_fp_ieee_div_zero 0
		.amdhsa_exception_fp_ieee_overflow 0
		.amdhsa_exception_fp_ieee_underflow 0
		.amdhsa_exception_fp_ieee_inexact 0
		.amdhsa_exception_int_div_zero 0
	.end_amdhsa_kernel
	.section	.text._ZN9rocsparseL12bsrilu0_9_32ILj64ELj64ELj32E21rocsparse_complex_numIdEEEv20rocsparse_direction_iPKiS5_PT2_S5_iPiS5_S8_21rocsparse_index_base_imNS_24const_host_device_scalarIfEENSA_IdEENSA_IS6_EEb,"axG",@progbits,_ZN9rocsparseL12bsrilu0_9_32ILj64ELj64ELj32E21rocsparse_complex_numIdEEEv20rocsparse_direction_iPKiS5_PT2_S5_iPiS5_S8_21rocsparse_index_base_imNS_24const_host_device_scalarIfEENSA_IdEENSA_IS6_EEb,comdat
.Lfunc_end25:
	.size	_ZN9rocsparseL12bsrilu0_9_32ILj64ELj64ELj32E21rocsparse_complex_numIdEEEv20rocsparse_direction_iPKiS5_PT2_S5_iPiS5_S8_21rocsparse_index_base_imNS_24const_host_device_scalarIfEENSA_IdEENSA_IS6_EEb, .Lfunc_end25-_ZN9rocsparseL12bsrilu0_9_32ILj64ELj64ELj32E21rocsparse_complex_numIdEEEv20rocsparse_direction_iPKiS5_PT2_S5_iPiS5_S8_21rocsparse_index_base_imNS_24const_host_device_scalarIfEENSA_IdEENSA_IS6_EEb
                                        ; -- End function
	.section	.AMDGPU.csdata,"",@progbits
; Kernel info:
; codeLenInByte = 5820
; NumSgprs: 73
; NumVgprs: 46
; NumAgprs: 0
; TotalNumVgprs: 46
; ScratchSize: 48
; MemoryBound: 0
; FloatMode: 240
; IeeeMode: 1
; LDSByteSize: 33792 bytes/workgroup (compile time only)
; SGPRBlocks: 9
; VGPRBlocks: 5
; NumSGPRsForWavesPerEU: 73
; NumVGPRsForWavesPerEU: 46
; AccumOffset: 48
; Occupancy: 1
; WaveLimiterHint : 1
; COMPUTE_PGM_RSRC2:SCRATCH_EN: 1
; COMPUTE_PGM_RSRC2:USER_SGPR: 8
; COMPUTE_PGM_RSRC2:TRAP_HANDLER: 0
; COMPUTE_PGM_RSRC2:TGID_X_EN: 1
; COMPUTE_PGM_RSRC2:TGID_Y_EN: 0
; COMPUTE_PGM_RSRC2:TGID_Z_EN: 0
; COMPUTE_PGM_RSRC2:TIDIG_COMP_CNT: 1
; COMPUTE_PGM_RSRC3_GFX90A:ACCUM_OFFSET: 11
; COMPUTE_PGM_RSRC3_GFX90A:TG_SPLIT: 0
	.section	.text._ZN9rocsparseL15bsrilu0_generalILj128ELj64ELb0E21rocsparse_complex_numIdEEEv20rocsparse_direction_iPKiS5_PT2_S5_iPiS5_S8_21rocsparse_index_base_imNS_24const_host_device_scalarIfEENSA_IdEENSA_IS6_EEb,"axG",@progbits,_ZN9rocsparseL15bsrilu0_generalILj128ELj64ELb0E21rocsparse_complex_numIdEEEv20rocsparse_direction_iPKiS5_PT2_S5_iPiS5_S8_21rocsparse_index_base_imNS_24const_host_device_scalarIfEENSA_IdEENSA_IS6_EEb,comdat
	.globl	_ZN9rocsparseL15bsrilu0_generalILj128ELj64ELb0E21rocsparse_complex_numIdEEEv20rocsparse_direction_iPKiS5_PT2_S5_iPiS5_S8_21rocsparse_index_base_imNS_24const_host_device_scalarIfEENSA_IdEENSA_IS6_EEb ; -- Begin function _ZN9rocsparseL15bsrilu0_generalILj128ELj64ELb0E21rocsparse_complex_numIdEEEv20rocsparse_direction_iPKiS5_PT2_S5_iPiS5_S8_21rocsparse_index_base_imNS_24const_host_device_scalarIfEENSA_IdEENSA_IS6_EEb
	.p2align	8
	.type	_ZN9rocsparseL15bsrilu0_generalILj128ELj64ELb0E21rocsparse_complex_numIdEEEv20rocsparse_direction_iPKiS5_PT2_S5_iPiS5_S8_21rocsparse_index_base_imNS_24const_host_device_scalarIfEENSA_IdEENSA_IS6_EEb,@function
_ZN9rocsparseL15bsrilu0_generalILj128ELj64ELb0E21rocsparse_complex_numIdEEEv20rocsparse_direction_iPKiS5_PT2_S5_iPiS5_S8_21rocsparse_index_base_imNS_24const_host_device_scalarIfEENSA_IdEENSA_IS6_EEb: ; @_ZN9rocsparseL15bsrilu0_generalILj128ELj64ELb0E21rocsparse_complex_numIdEEEv20rocsparse_direction_iPKiS5_PT2_S5_iPiS5_S8_21rocsparse_index_base_imNS_24const_host_device_scalarIfEENSA_IdEENSA_IS6_EEb
; %bb.0:
	s_add_u32 flat_scratch_lo, s6, s9
	s_load_dword s6, s[4:5], 0x78
	s_load_dwordx8 s[36:43], s[4:5], 0x50
	s_load_dwordx2 s[10:11], s[4:5], 0x70
	s_load_dwordx2 s[34:35], s[4:5], 0x48
	s_addc_u32 flat_scratch_hi, s7, 0
	s_add_u32 s0, s0, s9
	s_addc_u32 s1, s1, 0
	s_waitcnt lgkmcnt(0)
	s_bitcmp1_b32 s6, 0
	s_cselect_b64 s[6:7], -1, 0
	s_cmp_lg_u32 s35, 0
	s_cselect_b64 s[12:13], -1, 0
	s_cmp_eq_u32 s35, 0
	s_cselect_b64 s[18:19], -1, 0
	s_and_b64 s[14:15], s[18:19], exec
	v_mov_b32_e32 v1, s42
	s_cselect_b32 s16, 0, s40
	s_cselect_b32 s17, 0, s41
	s_or_b64 s[20:21], s[18:19], s[6:7]
	buffer_store_dword v1, off, s[0:3], 0 offset:32
	v_mov_b32_e32 v1, s43
	s_xor_b64 s[14:15], s[20:21], -1
	s_and_b64 vcc, exec, s[20:21]
	buffer_store_dword v1, off, s[0:3], 0 offset:36
	s_cbranch_vccnz .LBB26_2
; %bb.1:
	s_load_dword s9, s[38:39], 0x0
	s_mov_b64 s[16:17], s[40:41]
	s_waitcnt lgkmcnt(0)
	v_mov_b32_e32 v21, s9
	s_andn2_b64 vcc, exec, s[14:15]
	v_pk_mov_b32 v[24:25], s[16:17], s[16:17] op_sel:[0,1]
	s_cbranch_vccz .LBB26_3
	s_branch .LBB26_4
.LBB26_2:
	v_mov_b32_e32 v1, s38
	v_cndmask_b32_e64 v21, v1, 0, s[18:19]
	s_andn2_b64 vcc, exec, s[14:15]
	v_pk_mov_b32 v[24:25], s[16:17], s[16:17] op_sel:[0,1]
	s_cbranch_vccnz .LBB26_4
.LBB26_3:
	v_pk_mov_b32 v[2:3], s[40:41], s[40:41] op_sel:[0,1]
	flat_load_dwordx2 v[24:25], v[2:3]
.LBB26_4:
	v_cndmask_b32_e64 v1, 0, 1, s[12:13]
	v_pk_mov_b32 v[2:3], 0, 0
	v_cmp_ne_u32_e64 s[18:19], 1, v1
	s_andn2_b64 vcc, exec, s[12:13]
	v_pk_mov_b32 v[4:5], v[2:3], v[2:3] op_sel:[0,1]
	s_cbranch_vccnz .LBB26_7
; %bb.5:
	s_xor_b64 s[14:15], s[6:7], -1
	s_mov_b64 s[12:13], src_private_base
	s_and_b64 s[16:17], s[6:7], exec
	s_cselect_b32 s9, s13, s43
	v_mov_b32_e32 v1, 32
	v_mov_b32_e32 v2, s42
	v_cndmask_b32_e64 v2, v2, v1, s[6:7]
	v_mov_b32_e32 v3, s9
	flat_load_dwordx2 v[2:3], v[2:3]
	s_andn2_b64 vcc, exec, s[14:15]
	v_pk_mov_b32 v[4:5], s[10:11], s[10:11] op_sel:[0,1]
	s_cbranch_vccnz .LBB26_7
; %bb.6:
	v_pk_mov_b32 v[4:5], s[42:43], s[42:43] op_sel:[0,1]
	flat_load_dwordx2 v[4:5], v[4:5] offset:8
.LBB26_7:
	s_load_dwordx2 s[40:41], s[4:5], 0x0
	s_lshl_b32 s6, s8, 1
	v_lshrrev_b32_e32 v1, 6, v0
	s_and_b32 s6, s6, 0x3fffffe
	v_or_b32_e32 v1, s6, v1
	s_waitcnt lgkmcnt(0)
	v_cmp_gt_i32_e32 vcc, s41, v1
	s_waitcnt vmcnt(0)
	buffer_store_dword v3, off, s[0:3], 0 offset:4
	buffer_store_dword v2, off, s[0:3], 0
	buffer_store_dword v5, off, s[0:3], 0 offset:12
	buffer_store_dword v4, off, s[0:3], 0 offset:8
	s_and_saveexec_b64 s[6:7], vcc
	s_cbranch_execz .LBB26_158
; %bb.8:
	s_load_dwordx4 s[28:31], s[4:5], 0x30
	s_load_dwordx2 s[38:39], s[4:5], 0x40
	v_lshlrev_b32_e32 v1, 2, v1
	s_load_dwordx8 s[20:27], s[4:5], 0x8
	v_and_b32_e32 v20, 63, v0
	s_waitcnt lgkmcnt(0)
	global_load_dword v16, v1, s[30:31]
	s_mov_b64 s[6:7], -1
	v_mov_b32_e32 v1, s27
	s_waitcnt vmcnt(0)
	v_ashrrev_i32_e32 v17, 31, v16
	v_lshlrev_b64 v[18:19], 2, v[16:17]
	v_add_co_u32_e32 v2, vcc, s26, v18
	v_addc_co_u32_e32 v3, vcc, v1, v19, vcc
	global_load_dword v22, v[2:3], off
	s_waitcnt vmcnt(0)
	v_cmp_ne_u32_e32 vcc, -1, v22
	s_and_saveexec_b64 s[30:31], vcc
	s_cbranch_execz .LBB26_152
; %bb.9:
	v_mov_b32_e32 v1, s21
	v_add_co_u32_e32 v0, vcc, s20, v18
	v_addc_co_u32_e32 v1, vcc, v1, v19, vcc
	global_load_dwordx2 v[0:1], v[0:1], off
	s_load_dword s33, s[4:5], 0x28
	s_mov_b64 s[10:11], 0
	s_waitcnt vmcnt(0)
	v_subrev_u32_e32 v26, s34, v0
	v_subrev_u32_e32 v17, s34, v1
	v_cmp_lt_i32_e32 vcc, v26, v22
	s_and_saveexec_b64 s[4:5], vcc
	s_cbranch_execz .LBB26_81
; %bb.10:
	v_add_u32_e32 v28, v26, v20
	s_waitcnt lgkmcnt(0)
	s_cmp_gt_i32 s33, 0
	v_ashrrev_i32_e32 v29, 31, v28
	s_cselect_b64 s[12:13], -1, 0
	s_cmp_lg_u32 s40, 0
	v_lshlrev_b64 v[0:1], 2, v[28:29]
	s_cselect_b64 s[42:43], -1, 0
	s_add_i32 s35, s41, 1
	v_mov_b32_e32 v23, s23
	v_add_co_u32_e32 v30, vcc, s22, v0
	v_addc_co_u32_e32 v31, vcc, v23, v1, vcc
	s_add_u32 s41, s20, 4
	v_mad_u64_u32 v[0:1], s[14:15], s33, v26, v[20:21]
	s_addc_u32 s64, s21, 0
	v_mul_lo_u32 v29, s33, v0
	v_cndmask_b32_e64 v0, 0, 1, s[12:13]
	s_add_u32 s65, s22, 0x100
	v_cmp_ne_u32_e64 s[12:13], 1, v0
	v_mbcnt_lo_u32_b32 v0, -1, 0
	v_cmp_gt_i32_e64 s[6:7], s33, v20
	v_cmp_le_i32_e64 s[8:9], s33, v20
	v_cmp_lt_i32_e64 s[10:11], v28, v17
	s_addc_u32 s66, s23, 0
	s_mul_i32 s67, s33, s33
	s_lshl_b32 s68, s33, 6
	s_mov_b64 s[48:49], 0
	s_mov_b64 s[20:21], 0
	v_mov_b32_e32 v33, s27
	v_mbcnt_hi_u32_b32 v37, -1, v0
                                        ; implicit-def: $sgpr44_sgpr45
                                        ; implicit-def: $sgpr46_sgpr47
	s_branch .LBB26_13
.LBB26_11:                              ;   in Loop: Header=BB26_13 Depth=1
	s_or_b64 exec, exec, s[16:17]
	s_andn2_b64 s[16:17], s[46:47], exec
	s_and_b64 s[46:47], s[48:49], exec
	s_or_b64 s[46:47], s[16:17], s[46:47]
.LBB26_12:                              ;   in Loop: Header=BB26_13 Depth=1
	s_or_b64 exec, exec, s[50:51]
	v_add_u32_e32 v26, 1, v26
	v_cmp_ge_i32_e32 vcc, v26, v22
	s_xor_b64 s[14:15], s[14:15], -1
	s_or_b64 s[14:15], s[14:15], vcc
	s_and_b64 s[14:15], exec, s[14:15]
	s_or_b64 s[20:21], s[14:15], s[20:21]
	s_andn2_b64 s[14:15], s[44:45], exec
	s_and_b64 s[16:17], s[46:47], exec
	v_add_u32_e32 v29, s67, v29
	s_or_b64 s[44:45], s[14:15], s[16:17]
	s_mov_b64 s[48:49], s[46:47]
	s_andn2_b64 exec, exec, s[20:21]
	s_cbranch_execz .LBB26_80
.LBB26_13:                              ; =>This Loop Header: Depth=1
                                        ;     Child Loop BB26_16 Depth 2
                                        ;     Child Loop BB26_21 Depth 2
                                        ;       Child Loop BB26_26 Depth 3
                                        ;         Child Loop BB26_36 Depth 4
                                        ;     Child Loop BB26_54 Depth 2
                                        ;       Child Loop BB26_59 Depth 3
                                        ;       Child Loop BB26_66 Depth 3
                                        ;         Child Loop BB26_69 Depth 4
                                        ;           Child Loop BB26_71 Depth 5
	v_ashrrev_i32_e32 v27, 31, v26
	s_waitcnt lgkmcnt(0)
	v_lshlrev_b64 v[0:1], 2, v[26:27]
	v_add_co_u32_e32 v0, vcc, s22, v0
	v_addc_co_u32_e32 v1, vcc, v23, v1, vcc
	global_load_dword v0, v[0:1], off
	s_or_b64 s[46:47], s[46:47], exec
	s_waitcnt vmcnt(0)
	v_subrev_u32_e32 v0, s34, v0
	v_ashrrev_i32_e32 v1, 31, v0
	v_lshlrev_b64 v[0:1], 2, v[0:1]
	v_add_co_u32_e32 v2, vcc, s26, v0
	v_addc_co_u32_e32 v3, vcc, v33, v1, vcc
	global_load_dword v40, v[2:3], off
	s_waitcnt vmcnt(0)
	v_cmp_ne_u32_e64 s[14:15], -1, v40
	s_and_saveexec_b64 s[50:51], s[14:15]
	s_cbranch_execz .LBB26_12
; %bb.14:                               ;   in Loop: Header=BB26_13 Depth=1
	v_mov_b32_e32 v3, s64
	v_add_co_u32_e32 v2, vcc, s41, v0
	v_addc_co_u32_e32 v3, vcc, v3, v1, vcc
	global_load_dword v41, v[2:3], off
	v_mov_b32_e32 v2, s29
	v_add_co_u32_e32 v0, vcc, s28, v0
	v_addc_co_u32_e32 v1, vcc, v2, v1, vcc
	global_load_dword v2, v[0:1], off glc
	s_waitcnt vmcnt(0)
	v_cmp_eq_u32_e32 vcc, 0, v2
	s_and_saveexec_b64 s[16:17], vcc
	s_cbranch_execz .LBB26_17
; %bb.15:                               ;   in Loop: Header=BB26_13 Depth=1
	s_mov_b64 s[52:53], 0
.LBB26_16:                              ;   Parent Loop BB26_13 Depth=1
                                        ; =>  This Inner Loop Header: Depth=2
	global_load_dword v2, v[0:1], off glc
	s_waitcnt vmcnt(0)
	v_cmp_ne_u32_e32 vcc, 0, v2
	s_or_b64 s[52:53], vcc, s[52:53]
	s_andn2_b64 exec, exec, s[52:53]
	s_cbranch_execnz .LBB26_16
.LBB26_17:                              ;   in Loop: Header=BB26_13 Depth=1
	s_or_b64 exec, exec, s[16:17]
	s_and_b64 vcc, exec, s[12:13]
	v_mul_lo_u32 v27, v26, s33
	buffer_wbinvl1_vol
	s_cbranch_vccnz .LBB26_50
; %bb.18:                               ;   in Loop: Header=BB26_13 Depth=1
	v_mul_lo_u32 v42, v40, s33
	s_mov_b64 s[52:53], 0
	v_mov_b32_e32 v32, 0
	s_branch .LBB26_21
.LBB26_19:                              ;   in Loop: Header=BB26_21 Depth=2
	s_or_b64 exec, exec, s[56:57]
	v_mov_b32_e32 v32, v43
.LBB26_20:                              ;   in Loop: Header=BB26_21 Depth=2
	s_or_b64 exec, exec, s[54:55]
	v_cmp_eq_u32_e32 vcc, s33, v32
	s_or_b64 s[52:53], vcc, s[52:53]
	s_andn2_b64 exec, exec, s[52:53]
	s_cbranch_execz .LBB26_49
.LBB26_21:                              ;   Parent Loop BB26_13 Depth=1
                                        ; =>  This Loop Header: Depth=2
                                        ;       Child Loop BB26_26 Depth 3
                                        ;         Child Loop BB26_36 Depth 4
	v_add_u32_e32 v43, 1, v32
	s_and_saveexec_b64 s[16:17], s[8:9]
	s_xor_b64 s[16:17], exec, s[16:17]
; %bb.22:                               ;   in Loop: Header=BB26_21 Depth=2
	v_add_u32_e32 v32, 1, v32
                                        ; implicit-def: $vgpr43
; %bb.23:                               ;   in Loop: Header=BB26_21 Depth=2
	s_andn2_saveexec_b64 s[54:55], s[16:17]
	s_cbranch_execz .LBB26_20
; %bb.24:                               ;   in Loop: Header=BB26_21 Depth=2
	v_add_u32_e32 v0, v32, v42
	v_mul_lo_u32 v44, v0, s33
	v_add_u32_e32 v0, v44, v32
	v_ashrrev_i32_e32 v1, 31, v0
	v_lshlrev_b64 v[0:1], 4, v[0:1]
	v_mov_b32_e32 v2, s25
	v_add_co_u32_e32 v0, vcc, s24, v0
	v_addc_co_u32_e32 v1, vcc, v2, v1, vcc
	global_load_dwordx4 v[0:3], v[0:1], off
	v_add_u32_e32 v10, v32, v27
	v_mul_lo_u32 v46, v10, s33
	v_cmp_gt_i32_e64 s[16:17], s33, v43
	s_mov_b64 s[56:57], 0
	v_mov_b32_e32 v45, v29
	v_mov_b32_e32 v36, v20
	s_waitcnt vmcnt(0)
	v_mul_f64 v[4:5], v[2:3], v[2:3]
	v_fmac_f64_e32 v[4:5], v[0:1], v[0:1]
	v_div_scale_f64 v[6:7], s[58:59], v[4:5], v[4:5], 1.0
	v_rcp_f64_e32 v[8:9], v[6:7]
	v_div_scale_f64 v[10:11], vcc, 1.0, v[4:5], 1.0
	v_fma_f64 v[12:13], -v[6:7], v[8:9], 1.0
	v_fmac_f64_e32 v[8:9], v[8:9], v[12:13]
	v_fma_f64 v[12:13], -v[6:7], v[8:9], 1.0
	v_fmac_f64_e32 v[8:9], v[8:9], v[12:13]
	v_mul_f64 v[12:13], v[10:11], v[8:9]
	v_fma_f64 v[6:7], -v[6:7], v[12:13], v[10:11]
	v_div_fmas_f64 v[6:7], v[6:7], v[8:9], v[12:13]
	v_div_fixup_f64 v[34:35], v[6:7], v[4:5], 1.0
	s_branch .LBB26_26
.LBB26_25:                              ;   in Loop: Header=BB26_26 Depth=3
	s_or_b64 exec, exec, s[58:59]
	v_add_u32_e32 v36, 64, v36
	v_cmp_le_i32_e32 vcc, s33, v36
	s_or_b64 s[56:57], vcc, s[56:57]
	v_add_u32_e32 v45, s68, v45
	s_andn2_b64 exec, exec, s[56:57]
	s_cbranch_execz .LBB26_19
.LBB26_26:                              ;   Parent Loop BB26_13 Depth=1
                                        ;     Parent Loop BB26_21 Depth=2
                                        ; =>    This Loop Header: Depth=3
                                        ;         Child Loop BB26_36 Depth 4
	s_and_b64 vcc, exec, s[42:43]
	v_add_u32_e32 v10, v36, v46
	s_cbranch_vccz .LBB26_47
; %bb.27:                               ;   in Loop: Header=BB26_26 Depth=3
	v_add_u32_e32 v4, v36, v46
	v_add_u32_e32 v11, v36, v27
	s_cbranch_execnz .LBB26_29
.LBB26_28:                              ;   in Loop: Header=BB26_26 Depth=3
	v_mad_u64_u32 v[4:5], s[58:59], v11, s33, v[32:33]
.LBB26_29:                              ;   in Loop: Header=BB26_26 Depth=3
	v_ashrrev_i32_e32 v5, 31, v4
	v_lshlrev_b64 v[4:5], 4, v[4:5]
	v_mov_b32_e32 v6, s25
	v_add_co_u32_e32 v4, vcc, s24, v4
	v_addc_co_u32_e32 v5, vcc, v6, v5, vcc
	global_load_dwordx4 v[6:9], v[4:5], off
	s_and_b64 vcc, exec, s[42:43]
	s_cbranch_vccz .LBB26_48
; %bb.30:                               ;   in Loop: Header=BB26_26 Depth=3
	s_cbranch_execnz .LBB26_32
.LBB26_31:                              ;   in Loop: Header=BB26_26 Depth=3
	v_mad_u64_u32 v[10:11], s[58:59], v11, s33, v[32:33]
.LBB26_32:                              ;   in Loop: Header=BB26_26 Depth=3
	s_waitcnt vmcnt(0)
	v_mul_f64 v[4:5], v[2:3], v[8:9]
	v_fmac_f64_e32 v[4:5], v[6:7], v[0:1]
	v_mul_f64 v[6:7], v[2:3], -v[6:7]
	v_ashrrev_i32_e32 v11, 31, v10
	v_fmac_f64_e32 v[6:7], v[8:9], v[0:1]
	v_lshlrev_b64 v[8:9], 4, v[10:11]
	v_mov_b32_e32 v10, s25
	v_add_co_u32_e32 v8, vcc, s24, v8
	v_mul_f64 v[4:5], v[34:35], v[4:5]
	v_mul_f64 v[6:7], v[34:35], v[6:7]
	v_addc_co_u32_e32 v9, vcc, v10, v9, vcc
	global_store_dwordx4 v[8:9], v[4:7], off
	s_and_saveexec_b64 s[58:59], s[16:17]
	s_cbranch_execz .LBB26_25
; %bb.33:                               ;   in Loop: Header=BB26_26 Depth=3
	s_mov_b64 s[60:61], 0
	v_mov_b32_e32 v47, v43
	s_branch .LBB26_36
.LBB26_34:                              ;   in Loop: Header=BB26_36 Depth=4
	v_mov_b32_e32 v38, v48
.LBB26_35:                              ;   in Loop: Header=BB26_36 Depth=4
	s_waitcnt vmcnt(0)
	v_fma_f64 v[12:13], -v[4:5], v[8:9], v[12:13]
	v_fma_f64 v[8:9], -v[6:7], v[8:9], v[14:15]
	v_ashrrev_i32_e32 v39, 31, v38
	v_fma_f64 v[14:15], -v[4:5], v[10:11], v[8:9]
	v_lshlrev_b64 v[8:9], 4, v[38:39]
	v_fmac_f64_e32 v[12:13], v[6:7], v[10:11]
	v_mov_b32_e32 v10, s25
	v_add_co_u32_e32 v8, vcc, s24, v8
	v_addc_co_u32_e32 v9, vcc, v10, v9, vcc
	v_add_u32_e32 v47, 1, v47
	v_cmp_le_i32_e32 vcc, s33, v47
	s_or_b64 s[60:61], vcc, s[60:61]
	global_store_dwordx4 v[8:9], v[12:15], off
	s_andn2_b64 exec, exec, s[60:61]
	s_cbranch_execz .LBB26_25
.LBB26_36:                              ;   Parent Loop BB26_13 Depth=1
                                        ;     Parent Loop BB26_21 Depth=2
                                        ;       Parent Loop BB26_26 Depth=3
                                        ; =>      This Inner Loop Header: Depth=4
	s_and_b64 vcc, exec, s[42:43]
	s_cbranch_vccz .LBB26_44
; %bb.37:                               ;   in Loop: Header=BB26_36 Depth=4
	v_add_u32_e32 v8, v47, v42
	v_mad_u64_u32 v[8:9], s[62:63], v8, s33, v[32:33]
	s_cbranch_execnz .LBB26_39
.LBB26_38:                              ;   in Loop: Header=BB26_36 Depth=4
	v_add_u32_e32 v8, v44, v47
.LBB26_39:                              ;   in Loop: Header=BB26_36 Depth=4
	v_ashrrev_i32_e32 v9, 31, v8
	v_lshlrev_b64 v[8:9], 4, v[8:9]
	v_mov_b32_e32 v10, s25
	v_add_co_u32_e32 v8, vcc, s24, v8
	v_addc_co_u32_e32 v9, vcc, v10, v9, vcc
	global_load_dwordx4 v[8:11], v[8:9], off
	s_and_b64 vcc, exec, s[42:43]
	v_add_u32_e32 v38, v47, v27
	s_cbranch_vccz .LBB26_45
; %bb.40:                               ;   in Loop: Header=BB26_36 Depth=4
	v_mad_u64_u32 v[12:13], s[62:63], v38, s33, v[36:37]
	v_add_u32_e32 v48, v45, v47
	s_cbranch_execnz .LBB26_42
.LBB26_41:                              ;   in Loop: Header=BB26_36 Depth=4
	v_add_u32_e32 v12, v45, v47
.LBB26_42:                              ;   in Loop: Header=BB26_36 Depth=4
	v_ashrrev_i32_e32 v13, 31, v12
	v_lshlrev_b64 v[12:13], 4, v[12:13]
	v_mov_b32_e32 v14, s25
	v_add_co_u32_e32 v12, vcc, s24, v12
	v_addc_co_u32_e32 v13, vcc, v14, v13, vcc
	global_load_dwordx4 v[12:15], v[12:13], off
	s_and_b64 vcc, exec, s[42:43]
	s_cbranch_vccz .LBB26_46
; %bb.43:                               ;   in Loop: Header=BB26_36 Depth=4
	v_mad_u64_u32 v[38:39], s[62:63], v38, s33, v[36:37]
	s_cbranch_execnz .LBB26_35
	s_branch .LBB26_34
.LBB26_44:                              ;   in Loop: Header=BB26_36 Depth=4
                                        ; implicit-def: $vgpr8
	s_branch .LBB26_38
.LBB26_45:                              ;   in Loop: Header=BB26_36 Depth=4
                                        ; implicit-def: $vgpr12
	v_add_u32_e32 v48, v45, v47
	s_branch .LBB26_41
.LBB26_46:                              ;   in Loop: Header=BB26_36 Depth=4
                                        ; implicit-def: $vgpr38
	s_branch .LBB26_34
.LBB26_47:                              ;   in Loop: Header=BB26_26 Depth=3
                                        ; implicit-def: $vgpr4
	v_add_u32_e32 v11, v36, v27
	s_branch .LBB26_28
.LBB26_48:                              ;   in Loop: Header=BB26_26 Depth=3
                                        ; implicit-def: $vgpr10
	s_branch .LBB26_31
.LBB26_49:                              ;   in Loop: Header=BB26_13 Depth=1
	s_or_b64 exec, exec, s[52:53]
.LBB26_50:                              ;   in Loop: Header=BB26_13 Depth=1
	v_subrev_u32_e32 v7, s34, v41
	v_add_u32_e32 v4, 1, v40
	v_cmp_lt_i32_e32 vcc, v4, v7
	s_and_saveexec_b64 s[16:17], vcc
	s_cbranch_execz .LBB26_11
; %bb.51:                               ;   in Loop: Header=BB26_13 Depth=1
	v_mul_lo_u32 v14, s67, v4
	s_mov_b64 s[52:53], 0
	s_branch .LBB26_54
.LBB26_52:                              ;   in Loop: Header=BB26_54 Depth=2
	s_or_b64 exec, exec, s[54:55]
.LBB26_53:                              ;   in Loop: Header=BB26_54 Depth=2
	v_add_u32_e32 v4, 1, v4
	v_cmp_ge_i32_e32 vcc, v4, v7
	s_or_b64 s[52:53], vcc, s[52:53]
	v_add_u32_e32 v14, s67, v14
	s_andn2_b64 exec, exec, s[52:53]
	s_cbranch_execz .LBB26_11
.LBB26_54:                              ;   Parent Loop BB26_13 Depth=1
                                        ; =>  This Loop Header: Depth=2
                                        ;       Child Loop BB26_59 Depth 3
                                        ;       Child Loop BB26_66 Depth 3
                                        ;         Child Loop BB26_69 Depth 4
                                        ;           Child Loop BB26_71 Depth 5
	v_ashrrev_i32_e32 v5, 31, v4
	s_waitcnt lgkmcnt(0)
	v_lshlrev_b64 v[0:1], 2, v[4:5]
	v_mov_b32_e32 v2, s23
	v_add_co_u32_e32 v0, vcc, s22, v0
	v_addc_co_u32_e32 v1, vcc, v2, v1, vcc
	global_load_dword v0, v[0:1], off
	v_mov_b32_e32 v1, s35
	s_and_saveexec_b64 s[54:55], s[10:11]
	s_cbranch_execz .LBB26_56
; %bb.55:                               ;   in Loop: Header=BB26_54 Depth=2
	global_load_dword v1, v[30:31], off
	s_waitcnt vmcnt(0)
	v_subrev_u32_e32 v1, s34, v1
.LBB26_56:                              ;   in Loop: Header=BB26_54 Depth=2
	s_or_b64 exec, exec, s[54:55]
	s_waitcnt vmcnt(0)
	v_subrev_u32_e32 v2, s34, v0
	v_cmp_lt_i32_e32 vcc, v1, v2
	v_mov_b32_e32 v3, v28
	s_and_saveexec_b64 s[54:55], vcc
	s_cbranch_execz .LBB26_62
; %bb.57:                               ;   in Loop: Header=BB26_54 Depth=2
	s_mov_b64 s[56:57], 0
	v_mov_b32_e32 v0, v28
	s_branch .LBB26_59
.LBB26_58:                              ;   in Loop: Header=BB26_59 Depth=3
	s_or_b64 exec, exec, s[58:59]
	v_cmp_ge_i32_e32 vcc, v1, v2
	s_or_b64 s[56:57], vcc, s[56:57]
	v_mov_b32_e32 v0, v3
	s_andn2_b64 exec, exec, s[56:57]
	s_cbranch_execz .LBB26_61
.LBB26_59:                              ;   Parent Loop BB26_13 Depth=1
                                        ;     Parent Loop BB26_54 Depth=2
                                        ; =>    This Inner Loop Header: Depth=3
	v_add_u32_e32 v3, 64, v0
	v_cmp_lt_i32_e32 vcc, v3, v17
	v_mov_b32_e32 v1, s35
	s_and_saveexec_b64 s[58:59], vcc
	s_cbranch_execz .LBB26_58
; %bb.60:                               ;   in Loop: Header=BB26_59 Depth=3
	v_ashrrev_i32_e32 v1, 31, v0
	v_lshlrev_b64 v[0:1], 2, v[0:1]
	v_mov_b32_e32 v5, s66
	v_add_co_u32_e32 v0, vcc, s65, v0
	v_addc_co_u32_e32 v1, vcc, v5, v1, vcc
	global_load_dword v0, v[0:1], off
	s_waitcnt vmcnt(0)
	v_subrev_u32_e32 v1, s34, v0
	s_branch .LBB26_58
.LBB26_61:                              ;   in Loop: Header=BB26_54 Depth=2
	s_or_b64 exec, exec, s[56:57]
.LBB26_62:                              ;   in Loop: Header=BB26_54 Depth=2
	s_or_b64 exec, exec, s[54:55]
	v_cmp_eq_u32_e32 vcc, v1, v2
	s_cbranch_vccz .LBB26_53
; %bb.63:                               ;   in Loop: Header=BB26_54 Depth=2
	s_ff1_i32_b64 s27, vcc
	v_and_or_b32 v0, v37, 64, s27
	v_lshlrev_b32_e32 v0, 2, v0
	ds_bpermute_b32 v0, v0, v3
	s_and_saveexec_b64 s[54:55], s[6:7]
	s_cbranch_execz .LBB26_52
; %bb.64:                               ;   in Loop: Header=BB26_54 Depth=2
	v_mul_lo_u32 v5, v4, s33
	s_waitcnt lgkmcnt(0)
	v_mul_lo_u32 v15, v0, s33
	s_mov_b64 s[56:57], 0
	v_mov_b32_e32 v32, v29
	v_mov_b32_e32 v6, v20
	s_branch .LBB26_66
.LBB26_65:                              ;   in Loop: Header=BB26_66 Depth=3
	v_add_u32_e32 v6, 64, v6
	v_cmp_le_i32_e32 vcc, s33, v6
	s_or_b64 s[56:57], vcc, s[56:57]
	v_add_u32_e32 v32, s68, v32
	s_andn2_b64 exec, exec, s[56:57]
	s_cbranch_execz .LBB26_52
.LBB26_66:                              ;   Parent Loop BB26_13 Depth=1
                                        ;     Parent Loop BB26_54 Depth=2
                                        ; =>    This Loop Header: Depth=3
                                        ;         Child Loop BB26_69 Depth 4
                                        ;           Child Loop BB26_71 Depth 5
	v_add_u32_e32 v0, v6, v15
	v_mul_lo_u32 v34, v0, s33
	s_mov_b32 s27, 0
	v_mov_b32_e32 v35, v14
	s_branch .LBB26_69
.LBB26_67:                              ;   in Loop: Header=BB26_69 Depth=4
	v_add_u32_e32 v0, s27, v34
.LBB26_68:                              ;   in Loop: Header=BB26_69 Depth=4
	v_ashrrev_i32_e32 v1, 31, v0
	v_lshlrev_b64 v[0:1], 4, v[0:1]
	v_mov_b32_e32 v2, s25
	v_add_co_u32_e32 v12, vcc, s24, v0
	v_addc_co_u32_e32 v13, vcc, v2, v1, vcc
	global_load_dwordx4 v[0:3], v[12:13], off
	s_add_i32 s27, s27, 1
	s_cmp_eq_u32 s27, s33
	v_add_u32_e32 v35, 1, v35
	s_waitcnt vmcnt(0)
	v_add_f64 v[0:1], v[0:1], -v[8:9]
	v_add_f64 v[2:3], v[2:3], -v[10:11]
	global_store_dwordx4 v[12:13], v[0:3], off
	s_cbranch_scc1 .LBB26_65
.LBB26_69:                              ;   Parent Loop BB26_13 Depth=1
                                        ;     Parent Loop BB26_54 Depth=2
                                        ;       Parent Loop BB26_66 Depth=3
                                        ; =>      This Loop Header: Depth=4
                                        ;           Child Loop BB26_71 Depth 5
	v_add_u32_e32 v0, s27, v5
	v_pk_mov_b32 v[8:9], 0, 0
	v_mul_lo_u32 v36, v0, s33
	v_mov_b32_e32 v38, v35
	s_mov_b32 s60, 0
	v_pk_mov_b32 v[10:11], v[8:9], v[8:9] op_sel:[0,1]
	s_branch .LBB26_71
.LBB26_70:                              ;   in Loop: Header=BB26_71 Depth=5
	v_ashrrev_i32_e32 v13, 31, v12
	v_lshlrev_b64 v[12:13], 4, v[12:13]
	v_mov_b32_e32 v39, s25
	v_add_co_u32_e32 v12, vcc, s24, v12
	v_addc_co_u32_e32 v13, vcc, v39, v13, vcc
	global_load_dwordx4 v[40:43], v[12:13], off
	s_add_i32 s60, s60, 1
	s_cmp_eq_u32 s33, s60
	v_add_u32_e32 v38, s33, v38
	s_waitcnt vmcnt(0)
	v_fmac_f64_e32 v[8:9], v[0:1], v[40:41]
	v_fmac_f64_e32 v[10:11], v[2:3], v[40:41]
	v_fma_f64 v[8:9], -v[2:3], v[42:43], v[8:9]
	v_fmac_f64_e32 v[10:11], v[0:1], v[42:43]
	s_cbranch_scc1 .LBB26_77
.LBB26_71:                              ;   Parent Loop BB26_13 Depth=1
                                        ;     Parent Loop BB26_54 Depth=2
                                        ;       Parent Loop BB26_66 Depth=3
                                        ;         Parent Loop BB26_69 Depth=4
                                        ; =>        This Inner Loop Header: Depth=5
	s_and_b64 vcc, exec, s[42:43]
	s_cbranch_vccz .LBB26_76
; %bb.72:                               ;   in Loop: Header=BB26_71 Depth=5
	v_add_u32_e32 v0, s60, v27
	v_mad_u64_u32 v[0:1], s[58:59], v0, s33, v[6:7]
	s_cbranch_execnz .LBB26_74
.LBB26_73:                              ;   in Loop: Header=BB26_71 Depth=5
	v_add_u32_e32 v0, s60, v32
.LBB26_74:                              ;   in Loop: Header=BB26_71 Depth=5
	v_ashrrev_i32_e32 v1, 31, v0
	v_lshlrev_b64 v[0:1], 4, v[0:1]
	v_mov_b32_e32 v2, s25
	v_add_co_u32_e32 v0, vcc, s24, v0
	v_addc_co_u32_e32 v1, vcc, v2, v1, vcc
	global_load_dwordx4 v[0:3], v[0:1], off
	s_andn2_b64 vcc, exec, s[42:43]
	v_mov_b32_e32 v12, v38
	s_cbranch_vccnz .LBB26_70
; %bb.75:                               ;   in Loop: Header=BB26_71 Depth=5
	v_add_u32_e32 v12, s60, v36
	s_branch .LBB26_70
.LBB26_76:                              ;   in Loop: Header=BB26_71 Depth=5
                                        ; implicit-def: $vgpr0
	s_branch .LBB26_73
.LBB26_77:                              ;   in Loop: Header=BB26_69 Depth=4
	s_and_b64 vcc, exec, s[42:43]
	s_cbranch_vccz .LBB26_79
; %bb.78:                               ;   in Loop: Header=BB26_69 Depth=4
	v_add_u32_e32 v0, s27, v15
	v_mad_u64_u32 v[0:1], s[58:59], v0, s33, v[6:7]
	s_cbranch_execnz .LBB26_68
	s_branch .LBB26_67
.LBB26_79:                              ;   in Loop: Header=BB26_69 Depth=4
                                        ; implicit-def: $vgpr0
	s_branch .LBB26_67
.LBB26_80:
	s_or_b64 exec, exec, s[20:21]
	s_and_b64 s[10:11], s[44:45], exec
.LBB26_81:
	s_or_b64 exec, exec, s[4:5]
	v_ashrrev_i32_e32 v23, 31, v22
	s_waitcnt lgkmcnt(0)
	v_lshlrev_b64 v[0:1], 2, v[22:23]
	v_mov_b32_e32 v2, s23
	v_add_co_u32_e32 v0, vcc, s22, v0
	v_addc_co_u32_e32 v1, vcc, v2, v1, vcc
	global_load_dword v0, v[0:1], off
	s_cmp_gt_i32 s33, 0
	s_cselect_b64 s[12:13], -1, 0
	s_waitcnt vmcnt(0)
	v_subrev_u32_e32 v0, s34, v0
	v_cmp_eq_u32_e32 vcc, v0, v16
	s_and_b64 s[4:5], s[12:13], vcc
	s_and_saveexec_b64 s[14:15], s[4:5]
	s_cbranch_execz .LBB26_127
; %bb.82:
	s_cmp_eq_u64 s[36:37], 8
	v_cvt_f64_f32_e32 v[0:1], v21
	s_cselect_b64 vcc, -1, 0
	s_cmp_lg_u32 s40, 0
	v_mul_lo_u32 v15, v22, s33
	s_mov_b32 s22, 0
	v_cndmask_b32_e32 v13, v1, v25, vcc
	v_cndmask_b32_e32 v12, v0, v24, vcc
	s_cselect_b64 s[16:17], -1, 0
	v_cmp_eq_u32_e64 s[6:7], 0, v20
	v_add3_u32 v21, v15, v20, 1
	s_lshl_b32 s35, s33, 6
	s_mov_b64 s[20:21], 0
	v_mov_b32_e32 v14, 0
	v_mov_b32_e32 v23, s25
	s_brev_b32 s23, 8
	v_mov_b32_e32 v25, 0x260
	v_mov_b32_e32 v34, 0
	;; [unrolled: 1-line block ×4, first 2 shown]
	s_mov_b64 s[36:37], s[10:11]
                                        ; implicit-def: $sgpr26_sgpr27
	s_branch .LBB26_84
.LBB26_83:                              ;   in Loop: Header=BB26_84 Depth=1
	s_or_b64 exec, exec, s[8:9]
	v_cmp_eq_u32_e32 vcc, s33, v38
	s_or_b64 s[20:21], vcc, s[20:21]
	s_andn2_b64 s[4:5], s[26:27], exec
	s_and_b64 s[8:9], s[36:37], exec
	s_or_b64 s[26:27], s[4:5], s[8:9]
	v_mov_b32_e32 v14, v38
	s_andn2_b64 exec, exec, s[20:21]
	s_cbranch_execz .LBB26_126
.LBB26_84:                              ; =>This Loop Header: Depth=1
                                        ;     Child Loop BB26_100 Depth 2
                                        ;       Child Loop BB26_110 Depth 3
	v_add_u32_e32 v0, v14, v15
	v_mul_lo_u32 v37, v0, s33
	v_add_u32_e32 v0, v37, v14
	v_ashrrev_i32_e32 v1, 31, v0
	v_lshlrev_b64 v[0:1], 4, v[0:1]
	v_add_co_u32_e32 v4, vcc, s24, v0
	v_addc_co_u32_e32 v5, vcc, v23, v1, vcc
	global_load_dwordx4 v[0:3], v[4:5], off
	s_mov_b64 s[42:43], -1
	s_and_b64 vcc, exec, s[18:19]
	s_mov_b64 s[8:9], 0
	s_waitcnt vmcnt(0)
	buffer_store_dword v3, off, s[0:3], 0 offset:28
	buffer_store_dword v2, off, s[0:3], 0 offset:24
	;; [unrolled: 1-line block ×4, first 2 shown]
	s_cbranch_vccnz .LBB26_94
; %bb.85:                               ;   in Loop: Header=BB26_84 Depth=1
	v_xor_b32_e32 v6, 0x80000000, v1
	v_cmp_gt_f64_e32 vcc, 0, v[0:1]
	v_cndmask_b32_e32 v7, v1, v6, vcc
	v_cndmask_b32_e32 v6, v0, v0, vcc
	v_xor_b32_e32 v8, 0x80000000, v3
	v_cmp_gt_f64_e32 vcc, 0, v[2:3]
	v_cndmask_b32_e32 v9, v3, v8, vcc
	v_cndmask_b32_e32 v8, v2, v2, vcc
	v_cmp_ngt_f64_e32 vcc, v[6:7], v[8:9]
                                        ; implicit-def: $vgpr10_vgpr11
	s_and_saveexec_b64 s[4:5], vcc
	s_xor_b64 s[4:5], exec, s[4:5]
	s_cbranch_execz .LBB26_89
; %bb.86:                               ;   in Loop: Header=BB26_84 Depth=1
	v_cmp_neq_f64_e32 vcc, 0, v[2:3]
	v_pk_mov_b32 v[10:11], 0, 0
	s_and_saveexec_b64 s[8:9], vcc
	s_cbranch_execz .LBB26_88
; %bb.87:                               ;   in Loop: Header=BB26_84 Depth=1
	v_div_scale_f64 v[10:11], s[42:43], v[8:9], v[8:9], v[6:7]
	v_rcp_f64_e32 v[26:27], v[10:11]
	v_div_scale_f64 v[28:29], vcc, v[6:7], v[8:9], v[6:7]
	v_fma_f64 v[30:31], -v[10:11], v[26:27], 1.0
	v_fmac_f64_e32 v[26:27], v[26:27], v[30:31]
	v_fma_f64 v[30:31], -v[10:11], v[26:27], 1.0
	v_fmac_f64_e32 v[26:27], v[26:27], v[30:31]
	v_mul_f64 v[30:31], v[28:29], v[26:27]
	v_fma_f64 v[10:11], -v[10:11], v[30:31], v[28:29]
	v_div_fmas_f64 v[10:11], v[10:11], v[26:27], v[30:31]
	v_div_fixup_f64 v[6:7], v[10:11], v[8:9], v[6:7]
	v_fma_f64 v[6:7], v[6:7], v[6:7], 1.0
	v_cmp_gt_f64_e32 vcc, s[22:23], v[6:7]
	v_cndmask_b32_e64 v10, 0, 1, vcc
	v_lshlrev_b32_e32 v10, 8, v10
	v_ldexp_f64 v[6:7], v[6:7], v10
	v_rsq_f64_e32 v[10:11], v[6:7]
	v_mul_f64 v[26:27], v[6:7], v[10:11]
	v_mul_f64 v[10:11], v[10:11], 0.5
	v_fma_f64 v[28:29], -v[10:11], v[26:27], 0.5
	v_fmac_f64_e32 v[26:27], v[26:27], v[28:29]
	v_fma_f64 v[30:31], -v[26:27], v[26:27], v[6:7]
	v_fmac_f64_e32 v[10:11], v[10:11], v[28:29]
	v_fmac_f64_e32 v[26:27], v[30:31], v[10:11]
	v_fma_f64 v[28:29], -v[26:27], v[26:27], v[6:7]
	v_fmac_f64_e32 v[26:27], v[28:29], v[10:11]
	v_cndmask_b32_e32 v10, 0, v36, vcc
	v_ldexp_f64 v[10:11], v[26:27], v10
	v_cmp_class_f64_e32 vcc, v[6:7], v25
	v_cndmask_b32_e32 v7, v11, v7, vcc
	v_cndmask_b32_e32 v6, v10, v6, vcc
	v_mul_f64 v[10:11], v[8:9], v[6:7]
.LBB26_88:                              ;   in Loop: Header=BB26_84 Depth=1
	s_or_b64 exec, exec, s[8:9]
                                        ; implicit-def: $vgpr6_vgpr7
                                        ; implicit-def: $vgpr8_vgpr9
.LBB26_89:                              ;   in Loop: Header=BB26_84 Depth=1
	s_andn2_saveexec_b64 s[4:5], s[4:5]
	s_cbranch_execz .LBB26_91
; %bb.90:                               ;   in Loop: Header=BB26_84 Depth=1
	v_div_scale_f64 v[10:11], s[8:9], v[6:7], v[6:7], v[8:9]
	v_rcp_f64_e32 v[26:27], v[10:11]
	v_div_scale_f64 v[28:29], vcc, v[8:9], v[6:7], v[8:9]
	v_fma_f64 v[30:31], -v[10:11], v[26:27], 1.0
	v_fmac_f64_e32 v[26:27], v[26:27], v[30:31]
	v_fma_f64 v[30:31], -v[10:11], v[26:27], 1.0
	v_fmac_f64_e32 v[26:27], v[26:27], v[30:31]
	v_mul_f64 v[30:31], v[28:29], v[26:27]
	v_fma_f64 v[10:11], -v[10:11], v[30:31], v[28:29]
	v_div_fmas_f64 v[10:11], v[10:11], v[26:27], v[30:31]
	v_div_fixup_f64 v[8:9], v[10:11], v[6:7], v[8:9]
	v_fma_f64 v[8:9], v[8:9], v[8:9], 1.0
	v_cmp_gt_f64_e32 vcc, s[22:23], v[8:9]
	v_cndmask_b32_e64 v10, 0, 1, vcc
	v_lshlrev_b32_e32 v10, 8, v10
	v_ldexp_f64 v[8:9], v[8:9], v10
	v_rsq_f64_e32 v[10:11], v[8:9]
	v_mul_f64 v[26:27], v[8:9], v[10:11]
	v_mul_f64 v[10:11], v[10:11], 0.5
	v_fma_f64 v[28:29], -v[10:11], v[26:27], 0.5
	v_fmac_f64_e32 v[26:27], v[26:27], v[28:29]
	v_fma_f64 v[30:31], -v[26:27], v[26:27], v[8:9]
	v_fmac_f64_e32 v[10:11], v[10:11], v[28:29]
	v_fmac_f64_e32 v[26:27], v[30:31], v[10:11]
	v_fma_f64 v[28:29], -v[26:27], v[26:27], v[8:9]
	v_fmac_f64_e32 v[26:27], v[28:29], v[10:11]
	v_cndmask_b32_e32 v10, 0, v36, vcc
	v_ldexp_f64 v[10:11], v[26:27], v10
	v_cmp_class_f64_e32 vcc, v[8:9], v25
	v_cndmask_b32_e32 v9, v11, v9, vcc
	v_cndmask_b32_e32 v8, v10, v8, vcc
	v_mul_f64 v[10:11], v[6:7], v[8:9]
.LBB26_91:                              ;   in Loop: Header=BB26_84 Depth=1
	s_or_b64 exec, exec, s[4:5]
	v_cmp_le_f64_e32 vcc, v[10:11], v[12:13]
	v_cndmask_b32_e32 v6, v35, v34, vcc
	buffer_load_dword v7, v6, s[0:3], 0 offen
	buffer_load_dword v8, v6, s[0:3], 0 offen offset:4
	buffer_load_dword v9, v6, s[0:3], 0 offen offset:8
	;; [unrolled: 1-line block ×3, first 2 shown]
	s_waitcnt vmcnt(3)
	buffer_store_dword v7, off, s[0:3], 0 offset:16
	s_waitcnt vmcnt(3)
	buffer_store_dword v8, off, s[0:3], 0 offset:20
	;; [unrolled: 2-line block ×4, first 2 shown]
	s_and_saveexec_b64 s[4:5], s[6:7]
	s_cbranch_execz .LBB26_93
; %bb.92:                               ;   in Loop: Header=BB26_84 Depth=1
	buffer_load_dword v8, v6, s[0:3], 0 offen
	buffer_load_dword v9, v6, s[0:3], 0 offen offset:4
	buffer_load_dword v10, v6, s[0:3], 0 offen offset:8
	;; [unrolled: 1-line block ×3, first 2 shown]
	s_waitcnt vmcnt(0)
	global_store_dwordx4 v[4:5], v[8:11], off
.LBB26_93:                              ;   in Loop: Header=BB26_84 Depth=1
	s_or_b64 exec, exec, s[4:5]
	s_mov_b64 s[8:9], -1
	s_mov_b64 s[4:5], 0
	s_branch .LBB26_96
.LBB26_94:                              ;   in Loop: Header=BB26_84 Depth=1
	s_mov_b64 s[4:5], 0
	s_and_b64 vcc, exec, s[42:43]
	s_cbranch_vccz .LBB26_96
; %bb.95:                               ;   in Loop: Header=BB26_84 Depth=1
	v_cmp_neq_f64_e32 vcc, 0, v[0:1]
	v_cmp_neq_f64_e64 s[4:5], 0, v[2:3]
	s_or_b64 s[42:43], vcc, s[4:5]
	s_andn2_b64 s[8:9], s[8:9], exec
	s_and_b64 s[42:43], s[42:43], exec
	s_mov_b64 s[4:5], -1
	s_or_b64 s[8:9], s[8:9], s[42:43]
.LBB26_96:                              ;   in Loop: Header=BB26_84 Depth=1
                                        ; implicit-def: $sgpr44_sgpr45
                                        ; implicit-def: $vgpr38
	s_and_saveexec_b64 s[42:43], s[8:9]
	s_xor_b64 s[42:43], exec, s[42:43]
	s_cbranch_execz .LBB26_124
; %bb.97:                               ;   in Loop: Header=BB26_84 Depth=1
	v_add_u32_e32 v38, 1, v14
	v_add_u32_e32 v24, v38, v20
	v_cmp_gt_i32_e32 vcc, s33, v24
	s_and_saveexec_b64 s[44:45], vcc
	s_cbranch_execz .LBB26_123
; %bb.98:                               ;   in Loop: Header=BB26_84 Depth=1
	buffer_load_dword v26, off, s[0:3], 0 offset:24
	buffer_load_dword v27, off, s[0:3], 0 offset:28
	buffer_load_dword v28, off, s[0:3], 0 offset:16
	buffer_load_dword v29, off, s[0:3], 0 offset:20
	v_add_u32_e32 v6, v21, v14
	v_mul_lo_u32 v39, s33, v6
	v_cmp_gt_i32_e64 s[8:9], s33, v38
	s_waitcnt vmcnt(2)
	v_mul_f64 v[0:1], v[26:27], v[26:27]
	s_waitcnt vmcnt(0)
	v_fmac_f64_e32 v[0:1], v[28:29], v[28:29]
	v_div_scale_f64 v[2:3], s[46:47], v[0:1], v[0:1], 1.0
	v_rcp_f64_e32 v[4:5], v[2:3]
	v_div_scale_f64 v[6:7], vcc, 1.0, v[0:1], 1.0
	s_mov_b64 s[46:47], 0
	v_fma_f64 v[8:9], -v[2:3], v[4:5], 1.0
	v_fmac_f64_e32 v[4:5], v[4:5], v[8:9]
	v_fma_f64 v[8:9], -v[2:3], v[4:5], 1.0
	v_fmac_f64_e32 v[4:5], v[4:5], v[8:9]
	v_mul_f64 v[8:9], v[6:7], v[4:5]
	v_fma_f64 v[2:3], -v[2:3], v[8:9], v[6:7]
	v_div_fmas_f64 v[2:3], v[2:3], v[4:5], v[8:9]
	v_div_fixup_f64 v[30:31], v[2:3], v[0:1], 1.0
	s_branch .LBB26_100
.LBB26_99:                              ;   in Loop: Header=BB26_100 Depth=2
	s_or_b64 exec, exec, s[48:49]
	v_add_u32_e32 v24, 64, v24
	v_cmp_le_i32_e32 vcc, s33, v24
	s_or_b64 s[46:47], vcc, s[46:47]
	v_add_u32_e32 v39, s35, v39
	s_andn2_b64 exec, exec, s[46:47]
	s_cbranch_execz .LBB26_123
.LBB26_100:                             ;   Parent Loop BB26_84 Depth=1
                                        ; =>  This Loop Header: Depth=2
                                        ;       Child Loop BB26_110 Depth 3
	s_and_b64 vcc, exec, s[16:17]
	v_add_u32_e32 v6, v24, v37
	s_cbranch_vccz .LBB26_121
; %bb.101:                              ;   in Loop: Header=BB26_100 Depth=2
	v_add_u32_e32 v0, v24, v37
	s_cbranch_execnz .LBB26_103
.LBB26_102:                             ;   in Loop: Header=BB26_100 Depth=2
	v_add_u32_e32 v0, v24, v15
	v_mad_u64_u32 v[0:1], s[48:49], v0, s33, v[14:15]
.LBB26_103:                             ;   in Loop: Header=BB26_100 Depth=2
	v_ashrrev_i32_e32 v1, 31, v0
	v_lshlrev_b64 v[0:1], 4, v[0:1]
	v_mov_b32_e32 v2, s25
	v_add_co_u32_e32 v0, vcc, s24, v0
	v_addc_co_u32_e32 v1, vcc, v2, v1, vcc
	global_load_dwordx4 v[2:5], v[0:1], off
	s_and_b64 vcc, exec, s[16:17]
	s_cbranch_vccz .LBB26_122
; %bb.104:                              ;   in Loop: Header=BB26_100 Depth=2
	s_cbranch_execnz .LBB26_106
.LBB26_105:                             ;   in Loop: Header=BB26_100 Depth=2
	v_add_u32_e32 v0, v24, v15
	v_mad_u64_u32 v[6:7], s[48:49], v0, s33, v[14:15]
.LBB26_106:                             ;   in Loop: Header=BB26_100 Depth=2
	s_waitcnt vmcnt(0)
	v_mul_f64 v[0:1], v[26:27], v[4:5]
	v_fmac_f64_e32 v[0:1], v[2:3], v[28:29]
	v_mul_f64 v[2:3], v[26:27], -v[2:3]
	v_ashrrev_i32_e32 v7, 31, v6
	v_fmac_f64_e32 v[2:3], v[4:5], v[28:29]
	v_lshlrev_b64 v[4:5], 4, v[6:7]
	v_mov_b32_e32 v6, s25
	v_add_co_u32_e32 v4, vcc, s24, v4
	v_mul_f64 v[0:1], v[30:31], v[0:1]
	v_mul_f64 v[2:3], v[30:31], v[2:3]
	v_addc_co_u32_e32 v5, vcc, v6, v5, vcc
	global_store_dwordx4 v[4:5], v[0:3], off
	s_and_saveexec_b64 s[48:49], s[8:9]
	s_cbranch_execz .LBB26_99
; %bb.107:                              ;   in Loop: Header=BB26_100 Depth=2
	s_mov_b64 s[50:51], 0
	v_mov_b32_e32 v40, v38
	s_branch .LBB26_110
.LBB26_108:                             ;   in Loop: Header=BB26_110 Depth=3
	v_add_u32_e32 v32, v39, v40
.LBB26_109:                             ;   in Loop: Header=BB26_110 Depth=3
	s_waitcnt vmcnt(0)
	v_fma_f64 v[8:9], -v[0:1], v[4:5], v[8:9]
	v_fma_f64 v[4:5], -v[2:3], v[4:5], v[10:11]
	v_ashrrev_i32_e32 v33, 31, v32
	v_fma_f64 v[10:11], -v[0:1], v[6:7], v[4:5]
	v_lshlrev_b64 v[4:5], 4, v[32:33]
	v_fmac_f64_e32 v[8:9], v[2:3], v[6:7]
	v_mov_b32_e32 v6, s25
	v_add_co_u32_e32 v4, vcc, s24, v4
	v_addc_co_u32_e32 v5, vcc, v6, v5, vcc
	v_add_u32_e32 v40, 1, v40
	v_cmp_le_i32_e32 vcc, s33, v40
	s_or_b64 s[50:51], vcc, s[50:51]
	global_store_dwordx4 v[4:5], v[8:11], off
	s_andn2_b64 exec, exec, s[50:51]
	s_cbranch_execz .LBB26_99
.LBB26_110:                             ;   Parent Loop BB26_84 Depth=1
                                        ;     Parent Loop BB26_100 Depth=2
                                        ; =>    This Inner Loop Header: Depth=3
	s_and_b64 vcc, exec, s[16:17]
	v_add_u32_e32 v32, v40, v15
	s_cbranch_vccz .LBB26_118
; %bb.111:                              ;   in Loop: Header=BB26_110 Depth=3
	v_mad_u64_u32 v[4:5], s[52:53], v32, s33, v[14:15]
	s_cbranch_execnz .LBB26_113
.LBB26_112:                             ;   in Loop: Header=BB26_110 Depth=3
	v_add_u32_e32 v4, v37, v40
.LBB26_113:                             ;   in Loop: Header=BB26_110 Depth=3
	v_ashrrev_i32_e32 v5, 31, v4
	v_lshlrev_b64 v[4:5], 4, v[4:5]
	v_mov_b32_e32 v6, s25
	v_add_co_u32_e32 v4, vcc, s24, v4
	v_addc_co_u32_e32 v5, vcc, v6, v5, vcc
	global_load_dwordx4 v[4:7], v[4:5], off
	s_and_b64 vcc, exec, s[16:17]
	s_cbranch_vccz .LBB26_119
; %bb.114:                              ;   in Loop: Header=BB26_110 Depth=3
	v_mad_u64_u32 v[8:9], s[52:53], v32, s33, v[24:25]
	s_cbranch_execnz .LBB26_116
.LBB26_115:                             ;   in Loop: Header=BB26_110 Depth=3
	v_add_u32_e32 v8, v39, v40
.LBB26_116:                             ;   in Loop: Header=BB26_110 Depth=3
	v_ashrrev_i32_e32 v9, 31, v8
	v_lshlrev_b64 v[8:9], 4, v[8:9]
	v_mov_b32_e32 v10, s25
	v_add_co_u32_e32 v8, vcc, s24, v8
	v_addc_co_u32_e32 v9, vcc, v10, v9, vcc
	global_load_dwordx4 v[8:11], v[8:9], off
	s_and_b64 vcc, exec, s[16:17]
	s_cbranch_vccz .LBB26_120
; %bb.117:                              ;   in Loop: Header=BB26_110 Depth=3
	v_mad_u64_u32 v[32:33], s[52:53], v32, s33, v[24:25]
	s_cbranch_execnz .LBB26_109
	s_branch .LBB26_108
.LBB26_118:                             ;   in Loop: Header=BB26_110 Depth=3
                                        ; implicit-def: $vgpr4
	s_branch .LBB26_112
.LBB26_119:                             ;   in Loop: Header=BB26_110 Depth=3
                                        ; implicit-def: $vgpr8
	s_branch .LBB26_115
.LBB26_120:                             ;   in Loop: Header=BB26_110 Depth=3
                                        ; implicit-def: $vgpr32
	s_branch .LBB26_108
.LBB26_121:                             ;   in Loop: Header=BB26_100 Depth=2
                                        ; implicit-def: $vgpr0
	s_branch .LBB26_102
.LBB26_122:                             ;   in Loop: Header=BB26_100 Depth=2
                                        ; implicit-def: $vgpr6
	s_branch .LBB26_105
.LBB26_123:                             ;   in Loop: Header=BB26_84 Depth=1
	s_or_b64 exec, exec, s[44:45]
	s_and_b64 s[44:45], s[36:37], exec
	s_andn2_b64 s[4:5], s[4:5], exec
.LBB26_124:                             ;   in Loop: Header=BB26_84 Depth=1
	s_or_b64 exec, exec, s[42:43]
	s_andn2_b64 s[8:9], s[36:37], exec
	s_and_b64 s[36:37], s[44:45], exec
	s_or_b64 s[36:37], s[8:9], s[36:37]
	s_and_saveexec_b64 s[8:9], s[4:5]
	s_cbranch_execz .LBB26_83
; %bb.125:                              ;   in Loop: Header=BB26_84 Depth=1
	v_add_u32_e32 v38, 1, v14
	s_or_b64 s[36:37], s[36:37], exec
	s_branch .LBB26_83
.LBB26_126:
	s_or_b64 exec, exec, s[20:21]
	s_andn2_b64 s[4:5], s[10:11], exec
	s_and_b64 s[6:7], s[26:27], exec
	s_or_b64 s[10:11], s[4:5], s[6:7]
.LBB26_127:
	s_or_b64 exec, exec, s[14:15]
	v_add_u32_e32 v14, 1, v22
	v_cmp_lt_i32_e32 vcc, v14, v17
	s_and_saveexec_b64 s[14:15], vcc
	s_cbranch_execz .LBB26_151
; %bb.128:
	v_mul_lo_u32 v15, v22, s33
	v_mul_lo_u32 v0, s33, v15
	s_mul_i32 s27, s33, s33
	v_add_u32_e32 v21, s33, v0
	v_mul_lo_u32 v0, s27, v14
	s_cmp_lg_u32 s40, 0
	v_add3_u32 v22, v0, s33, v20
	v_cndmask_b32_e64 v0, 0, 1, s[12:13]
	v_cmp_gt_i32_e64 s[4:5], s33, v20
	s_cselect_b64 s[16:17], -1, 0
	s_add_i32 s26, s33, 1
	s_mov_b64 s[18:19], 0
	v_cmp_ne_u32_e64 s[6:7], 1, v0
	s_branch .LBB26_130
.LBB26_129:                             ;   in Loop: Header=BB26_130 Depth=1
	v_add_u32_e32 v14, 1, v14
	v_cmp_ge_i32_e32 vcc, v14, v17
	s_or_b64 s[18:19], vcc, s[18:19]
	v_add_u32_e32 v22, s27, v22
	s_andn2_b64 exec, exec, s[18:19]
	s_cbranch_execz .LBB26_151
.LBB26_130:                             ; =>This Loop Header: Depth=1
                                        ;     Child Loop BB26_133 Depth 2
                                        ;       Child Loop BB26_136 Depth 3
                                        ;         Child Loop BB26_140 Depth 4
	s_and_b64 vcc, exec, s[6:7]
	s_cbranch_vccnz .LBB26_129
; %bb.131:                              ;   in Loop: Header=BB26_130 Depth=1
	v_mul_lo_u32 v23, v14, s33
	s_mov_b32 s35, 0
	v_mov_b32_e32 v24, v22
	v_mov_b32_e32 v25, v21
	s_branch .LBB26_133
.LBB26_132:                             ;   in Loop: Header=BB26_133 Depth=2
	s_or_b64 exec, exec, s[12:13]
	v_add_u32_e32 v25, s26, v25
	v_add_u32_e32 v24, s33, v24
	s_cmp_eq_u32 s36, s33
	s_mov_b32 s35, s36
	s_cbranch_scc1 .LBB26_129
.LBB26_133:                             ;   Parent Loop BB26_130 Depth=1
                                        ; =>  This Loop Header: Depth=2
                                        ;       Child Loop BB26_136 Depth 3
                                        ;         Child Loop BB26_140 Depth 4
	s_add_i32 s36, s35, 1
	s_and_saveexec_b64 s[12:13], s[4:5]
	s_cbranch_execz .LBB26_132
; %bb.134:                              ;   in Loop: Header=BB26_133 Depth=2
	s_cmp_lt_i32 s36, s33
	v_add_u32_e32 v0, s35, v15
	v_mul_lo_u32 v26, v0, s33
	v_add_u32_e32 v0, s35, v23
	s_cselect_b64 s[8:9], -1, 0
	v_mul_lo_u32 v27, v0, s33
	v_cndmask_b32_e64 v0, 0, 1, s[8:9]
	s_mov_b64 s[20:21], 0
	v_cmp_ne_u32_e64 s[8:9], 1, v0
	v_mov_b32_e32 v28, v24
	v_mov_b32_e32 v29, v20
	s_branch .LBB26_136
.LBB26_135:                             ;   in Loop: Header=BB26_136 Depth=3
	v_add_u32_e32 v29, 64, v29
	v_cmp_le_i32_e32 vcc, s33, v29
	s_or_b64 s[20:21], vcc, s[20:21]
	v_add_u32_e32 v28, 64, v28
	s_andn2_b64 exec, exec, s[20:21]
	s_cbranch_execz .LBB26_132
.LBB26_136:                             ;   Parent Loop BB26_130 Depth=1
                                        ;     Parent Loop BB26_133 Depth=2
                                        ; =>    This Loop Header: Depth=3
                                        ;         Child Loop BB26_140 Depth 4
	s_and_b64 vcc, exec, s[8:9]
	s_cbranch_vccnz .LBB26_135
; %bb.137:                              ;   in Loop: Header=BB26_136 Depth=3
	v_add_u32_e32 v0, v29, v23
	v_mul_lo_u32 v30, v0, s33
	v_add_u32_e32 v31, s35, v30
	v_add_u32_e32 v32, v29, v27
	s_mov_b32 s37, 0
	s_mov_b32 s40, s36
	s_branch .LBB26_140
.LBB26_138:                             ;   in Loop: Header=BB26_140 Depth=4
	v_mov_b32_e32 v12, v13
.LBB26_139:                             ;   in Loop: Header=BB26_140 Depth=4
	s_waitcnt vmcnt(0)
	v_fma_f64 v[8:9], -v[0:1], v[4:5], v[8:9]
	v_fmac_f64_e32 v[8:9], v[2:3], v[6:7]
	v_fma_f64 v[2:3], -v[2:3], v[4:5], v[10:11]
	v_ashrrev_i32_e32 v13, 31, v12
	v_fma_f64 v[10:11], -v[0:1], v[6:7], v[2:3]
	v_lshlrev_b64 v[0:1], 4, v[12:13]
	v_mov_b32_e32 v2, s25
	v_add_co_u32_e32 v0, vcc, s24, v0
	s_add_i32 s40, s40, 1
	s_add_i32 s37, s37, s33
	v_addc_co_u32_e32 v1, vcc, v2, v1, vcc
	s_cmp_ge_i32 s40, s33
	global_store_dwordx4 v[0:1], v[8:11], off
	s_cbranch_scc1 .LBB26_135
.LBB26_140:                             ;   Parent Loop BB26_130 Depth=1
                                        ;     Parent Loop BB26_133 Depth=2
                                        ;       Parent Loop BB26_136 Depth=3
                                        ; =>      This Inner Loop Header: Depth=4
	s_and_b64 vcc, exec, s[16:17]
	s_cbranch_vccz .LBB26_148
; %bb.141:                              ;   in Loop: Header=BB26_140 Depth=4
	v_add_u32_e32 v0, s40, v26
	v_mov_b32_e32 v2, v31
	s_cbranch_execnz .LBB26_143
.LBB26_142:                             ;   in Loop: Header=BB26_140 Depth=4
	v_add_u32_e32 v0, s37, v25
	v_mov_b32_e32 v2, v32
.LBB26_143:                             ;   in Loop: Header=BB26_140 Depth=4
	v_ashrrev_i32_e32 v1, 31, v0
	v_lshlrev_b64 v[0:1], 4, v[0:1]
	v_mov_b32_e32 v3, s25
	v_add_co_u32_e32 v8, vcc, s24, v0
	v_addc_co_u32_e32 v9, vcc, v3, v1, vcc
	v_ashrrev_i32_e32 v3, 31, v2
	v_lshlrev_b64 v[0:1], 4, v[2:3]
	v_mov_b32_e32 v2, s25
	v_add_co_u32_e32 v10, vcc, s24, v0
	v_addc_co_u32_e32 v11, vcc, v2, v1, vcc
	global_load_dwordx4 v[0:3], v[8:9], off
	global_load_dwordx4 v[4:7], v[10:11], off
	s_and_b64 vcc, exec, s[16:17]
	v_add_u32_e32 v12, s40, v30
	s_cbranch_vccz .LBB26_149
; %bb.144:                              ;   in Loop: Header=BB26_140 Depth=4
	v_add_u32_e32 v8, s40, v30
	v_add_u32_e32 v13, s37, v28
	s_cbranch_execnz .LBB26_146
.LBB26_145:                             ;   in Loop: Header=BB26_140 Depth=4
	v_add_u32_e32 v8, s37, v28
.LBB26_146:                             ;   in Loop: Header=BB26_140 Depth=4
	v_ashrrev_i32_e32 v9, 31, v8
	v_lshlrev_b64 v[8:9], 4, v[8:9]
	v_mov_b32_e32 v10, s25
	v_add_co_u32_e32 v8, vcc, s24, v8
	v_addc_co_u32_e32 v9, vcc, v10, v9, vcc
	global_load_dwordx4 v[8:11], v[8:9], off
	s_and_b64 vcc, exec, s[16:17]
	s_cbranch_vccz .LBB26_150
; %bb.147:                              ;   in Loop: Header=BB26_140 Depth=4
	s_cbranch_execnz .LBB26_139
	s_branch .LBB26_138
.LBB26_148:                             ;   in Loop: Header=BB26_140 Depth=4
                                        ; implicit-def: $vgpr0
	v_mov_b32_e32 v2, v31
	s_branch .LBB26_142
.LBB26_149:                             ;   in Loop: Header=BB26_140 Depth=4
                                        ; implicit-def: $vgpr8
	v_add_u32_e32 v13, s37, v28
	s_branch .LBB26_145
.LBB26_150:                             ;   in Loop: Header=BB26_140 Depth=4
                                        ; implicit-def: $vgpr12
	s_branch .LBB26_138
.LBB26_151:
	s_or_b64 exec, exec, s[14:15]
	s_orn2_b64 s[6:7], s[10:11], exec
.LBB26_152:
	s_or_b64 exec, exec, s[30:31]
	v_cmp_eq_u32_e32 vcc, 0, v20
	s_and_b64 exec, exec, vcc
	s_cbranch_execz .LBB26_158
; %bb.153:
	v_mov_b32_e32 v1, s29
	v_add_co_u32_e32 v0, vcc, s28, v18
	v_addc_co_u32_e32 v1, vcc, v1, v19, vcc
	v_mov_b32_e32 v2, 1
	s_waitcnt vmcnt(0)
	global_store_dword v[0:1], v2, off
	s_and_b64 exec, exec, s[6:7]
	s_cbranch_execz .LBB26_158
; %bb.154:
	s_mov_b64 s[4:5], exec
	v_add_u32_e32 v0, s34, v16
	s_brev_b32 s6, -2
.LBB26_155:                             ; =>This Inner Loop Header: Depth=1
	s_ff1_i32_b64 s7, s[4:5]
	v_readlane_b32 s10, v0, s7
	s_lshl_b64 s[8:9], 1, s7
	s_min_i32 s6, s6, s10
	s_andn2_b64 s[4:5], s[4:5], s[8:9]
	s_cmp_lg_u64 s[4:5], 0
	s_cbranch_scc1 .LBB26_155
; %bb.156:
	v_mbcnt_lo_u32_b32 v0, exec_lo, 0
	v_mbcnt_hi_u32_b32 v0, exec_hi, v0
	v_cmp_eq_u32_e32 vcc, 0, v0
	s_and_saveexec_b64 s[4:5], vcc
	s_xor_b64 s[4:5], exec, s[4:5]
	s_cbranch_execz .LBB26_158
; %bb.157:
	v_mov_b32_e32 v0, 0
	v_mov_b32_e32 v1, s6
	global_atomic_smin v0, v1, s[38:39]
.LBB26_158:
	s_endpgm
	.section	.rodata,"a",@progbits
	.p2align	6, 0x0
	.amdhsa_kernel _ZN9rocsparseL15bsrilu0_generalILj128ELj64ELb0E21rocsparse_complex_numIdEEEv20rocsparse_direction_iPKiS5_PT2_S5_iPiS5_S8_21rocsparse_index_base_imNS_24const_host_device_scalarIfEENSA_IdEENSA_IS6_EEb
		.amdhsa_group_segment_fixed_size 0
		.amdhsa_private_segment_fixed_size 48
		.amdhsa_kernarg_size 124
		.amdhsa_user_sgpr_count 8
		.amdhsa_user_sgpr_private_segment_buffer 1
		.amdhsa_user_sgpr_dispatch_ptr 0
		.amdhsa_user_sgpr_queue_ptr 0
		.amdhsa_user_sgpr_kernarg_segment_ptr 1
		.amdhsa_user_sgpr_dispatch_id 0
		.amdhsa_user_sgpr_flat_scratch_init 1
		.amdhsa_user_sgpr_kernarg_preload_length 0
		.amdhsa_user_sgpr_kernarg_preload_offset 0
		.amdhsa_user_sgpr_private_segment_size 0
		.amdhsa_uses_dynamic_stack 0
		.amdhsa_system_sgpr_private_segment_wavefront_offset 1
		.amdhsa_system_sgpr_workgroup_id_x 1
		.amdhsa_system_sgpr_workgroup_id_y 0
		.amdhsa_system_sgpr_workgroup_id_z 0
		.amdhsa_system_sgpr_workgroup_info 0
		.amdhsa_system_vgpr_workitem_id 0
		.amdhsa_next_free_vgpr 49
		.amdhsa_next_free_sgpr 69
		.amdhsa_accum_offset 52
		.amdhsa_reserve_vcc 1
		.amdhsa_reserve_flat_scratch 1
		.amdhsa_float_round_mode_32 0
		.amdhsa_float_round_mode_16_64 0
		.amdhsa_float_denorm_mode_32 3
		.amdhsa_float_denorm_mode_16_64 3
		.amdhsa_dx10_clamp 1
		.amdhsa_ieee_mode 1
		.amdhsa_fp16_overflow 0
		.amdhsa_tg_split 0
		.amdhsa_exception_fp_ieee_invalid_op 0
		.amdhsa_exception_fp_denorm_src 0
		.amdhsa_exception_fp_ieee_div_zero 0
		.amdhsa_exception_fp_ieee_overflow 0
		.amdhsa_exception_fp_ieee_underflow 0
		.amdhsa_exception_fp_ieee_inexact 0
		.amdhsa_exception_int_div_zero 0
	.end_amdhsa_kernel
	.section	.text._ZN9rocsparseL15bsrilu0_generalILj128ELj64ELb0E21rocsparse_complex_numIdEEEv20rocsparse_direction_iPKiS5_PT2_S5_iPiS5_S8_21rocsparse_index_base_imNS_24const_host_device_scalarIfEENSA_IdEENSA_IS6_EEb,"axG",@progbits,_ZN9rocsparseL15bsrilu0_generalILj128ELj64ELb0E21rocsparse_complex_numIdEEEv20rocsparse_direction_iPKiS5_PT2_S5_iPiS5_S8_21rocsparse_index_base_imNS_24const_host_device_scalarIfEENSA_IdEENSA_IS6_EEb,comdat
.Lfunc_end26:
	.size	_ZN9rocsparseL15bsrilu0_generalILj128ELj64ELb0E21rocsparse_complex_numIdEEEv20rocsparse_direction_iPKiS5_PT2_S5_iPiS5_S8_21rocsparse_index_base_imNS_24const_host_device_scalarIfEENSA_IdEENSA_IS6_EEb, .Lfunc_end26-_ZN9rocsparseL15bsrilu0_generalILj128ELj64ELb0E21rocsparse_complex_numIdEEEv20rocsparse_direction_iPKiS5_PT2_S5_iPiS5_S8_21rocsparse_index_base_imNS_24const_host_device_scalarIfEENSA_IdEENSA_IS6_EEb
                                        ; -- End function
	.section	.AMDGPU.csdata,"",@progbits
; Kernel info:
; codeLenInByte = 4908
; NumSgprs: 75
; NumVgprs: 49
; NumAgprs: 0
; TotalNumVgprs: 49
; ScratchSize: 48
; MemoryBound: 0
; FloatMode: 240
; IeeeMode: 1
; LDSByteSize: 0 bytes/workgroup (compile time only)
; SGPRBlocks: 9
; VGPRBlocks: 6
; NumSGPRsForWavesPerEU: 75
; NumVGPRsForWavesPerEU: 49
; AccumOffset: 52
; Occupancy: 8
; WaveLimiterHint : 1
; COMPUTE_PGM_RSRC2:SCRATCH_EN: 1
; COMPUTE_PGM_RSRC2:USER_SGPR: 8
; COMPUTE_PGM_RSRC2:TRAP_HANDLER: 0
; COMPUTE_PGM_RSRC2:TGID_X_EN: 1
; COMPUTE_PGM_RSRC2:TGID_Y_EN: 0
; COMPUTE_PGM_RSRC2:TGID_Z_EN: 0
; COMPUTE_PGM_RSRC2:TIDIG_COMP_CNT: 0
; COMPUTE_PGM_RSRC3_GFX90A:ACCUM_OFFSET: 12
; COMPUTE_PGM_RSRC3_GFX90A:TG_SPLIT: 0
	.text
	.p2alignl 6, 3212836864
	.fill 256, 4, 3212836864
	.type	__hip_cuid_ca7e1f6df4fe9e8f,@object ; @__hip_cuid_ca7e1f6df4fe9e8f
	.section	.bss,"aw",@nobits
	.globl	__hip_cuid_ca7e1f6df4fe9e8f
__hip_cuid_ca7e1f6df4fe9e8f:
	.byte	0                               ; 0x0
	.size	__hip_cuid_ca7e1f6df4fe9e8f, 1

	.ident	"AMD clang version 19.0.0git (https://github.com/RadeonOpenCompute/llvm-project roc-6.4.0 25133 c7fe45cf4b819c5991fe208aaa96edf142730f1d)"
	.section	".note.GNU-stack","",@progbits
	.addrsig
	.addrsig_sym __hip_cuid_ca7e1f6df4fe9e8f
	.amdgpu_metadata
---
amdhsa.kernels:
  - .agpr_count:     0
    .args:
      - .offset:         0
        .size:           4
        .value_kind:     by_value
      - .offset:         4
        .size:           4
        .value_kind:     by_value
      - .address_space:  global
        .offset:         8
        .size:           8
        .value_kind:     global_buffer
      - .address_space:  global
        .offset:         16
        .size:           8
        .value_kind:     global_buffer
      - .address_space:  global
        .offset:         24
        .size:           8
        .value_kind:     global_buffer
      - .address_space:  global
        .offset:         32
        .size:           8
        .value_kind:     global_buffer
      - .offset:         40
        .size:           4
        .value_kind:     by_value
      - .address_space:  global
        .offset:         48
        .size:           8
        .value_kind:     global_buffer
      - .address_space:  global
        .offset:         56
        .size:           8
        .value_kind:     global_buffer
      - .address_space:  global
        .offset:         64
        .size:           8
        .value_kind:     global_buffer
      - .offset:         72
        .size:           4
        .value_kind:     by_value
      - .offset:         76
        .size:           4
        .value_kind:     by_value
      - .offset:         80
        .size:           8
        .value_kind:     by_value
      - .offset:         88
        .size:           8
        .value_kind:     by_value
      - .offset:         96
        .size:           8
        .value_kind:     by_value
      - .offset:         104
        .size:           8
        .value_kind:     by_value
      - .offset:         112
        .size:           1
        .value_kind:     by_value
    .group_segment_fixed_size: 0
    .kernarg_segment_align: 8
    .kernarg_segment_size: 116
    .language:       OpenCL C
    .language_version:
      - 2
      - 0
    .max_flat_workgroup_size: 128
    .name:           _ZN9rocsparseL15bsrilu0_generalILj128ELj64ELb1EfEEv20rocsparse_direction_iPKiS3_PT2_S3_iPiS3_S6_21rocsparse_index_base_imNS_24const_host_device_scalarIfEENS8_IdEENS8_IS4_EEb
    .private_segment_fixed_size: 0
    .sgpr_count:     69
    .sgpr_spill_count: 0
    .symbol:         _ZN9rocsparseL15bsrilu0_generalILj128ELj64ELb1EfEEv20rocsparse_direction_iPKiS3_PT2_S3_iPiS3_S6_21rocsparse_index_base_imNS_24const_host_device_scalarIfEENS8_IdEENS8_IS4_EEb.kd
    .uniform_work_group_size: 1
    .uses_dynamic_stack: false
    .vgpr_count:     37
    .vgpr_spill_count: 0
    .wavefront_size: 64
  - .agpr_count:     0
    .args:
      - .offset:         0
        .size:           4
        .value_kind:     by_value
      - .offset:         4
        .size:           4
        .value_kind:     by_value
      - .address_space:  global
        .offset:         8
        .size:           8
        .value_kind:     global_buffer
      - .address_space:  global
        .offset:         16
        .size:           8
        .value_kind:     global_buffer
      - .address_space:  global
        .offset:         24
        .size:           8
        .value_kind:     global_buffer
      - .address_space:  global
        .offset:         32
        .size:           8
        .value_kind:     global_buffer
      - .offset:         40
        .size:           4
        .value_kind:     by_value
      - .address_space:  global
        .offset:         48
        .size:           8
        .value_kind:     global_buffer
      - .address_space:  global
        .offset:         56
        .size:           8
        .value_kind:     global_buffer
      - .address_space:  global
        .offset:         64
        .size:           8
        .value_kind:     global_buffer
      - .offset:         72
        .size:           4
        .value_kind:     by_value
      - .offset:         76
        .size:           4
        .value_kind:     by_value
      - .offset:         80
        .size:           8
        .value_kind:     by_value
      - .offset:         88
        .size:           8
        .value_kind:     by_value
      - .offset:         96
        .size:           8
        .value_kind:     by_value
      - .offset:         104
        .size:           8
        .value_kind:     by_value
      - .offset:         112
        .size:           1
        .value_kind:     by_value
    .group_segment_fixed_size: 0
    .kernarg_segment_align: 8
    .kernarg_segment_size: 116
    .language:       OpenCL C
    .language_version:
      - 2
      - 0
    .max_flat_workgroup_size: 128
    .name:           _ZN9rocsparseL15bsrilu0_generalILj128ELj32ELb0EfEEv20rocsparse_direction_iPKiS3_PT2_S3_iPiS3_S6_21rocsparse_index_base_imNS_24const_host_device_scalarIfEENS8_IdEENS8_IS4_EEb
    .private_segment_fixed_size: 0
    .sgpr_count:     69
    .sgpr_spill_count: 0
    .symbol:         _ZN9rocsparseL15bsrilu0_generalILj128ELj32ELb0EfEEv20rocsparse_direction_iPKiS3_PT2_S3_iPiS3_S6_21rocsparse_index_base_imNS_24const_host_device_scalarIfEENS8_IdEENS8_IS4_EEb.kd
    .uniform_work_group_size: 1
    .uses_dynamic_stack: false
    .vgpr_count:     37
    .vgpr_spill_count: 0
    .wavefront_size: 64
  - .agpr_count:     0
    .args:
      - .offset:         0
        .size:           4
        .value_kind:     by_value
      - .offset:         4
        .size:           4
        .value_kind:     by_value
      - .address_space:  global
        .offset:         8
        .size:           8
        .value_kind:     global_buffer
      - .address_space:  global
        .offset:         16
        .size:           8
        .value_kind:     global_buffer
      - .address_space:  global
        .offset:         24
        .size:           8
        .value_kind:     global_buffer
      - .address_space:  global
        .offset:         32
        .size:           8
        .value_kind:     global_buffer
      - .offset:         40
        .size:           4
        .value_kind:     by_value
      - .address_space:  global
        .offset:         48
        .size:           8
        .value_kind:     global_buffer
      - .address_space:  global
        .offset:         56
        .size:           8
        .value_kind:     global_buffer
      - .address_space:  global
        .offset:         64
        .size:           8
        .value_kind:     global_buffer
      - .offset:         72
        .size:           4
        .value_kind:     by_value
      - .offset:         76
        .size:           4
        .value_kind:     by_value
      - .offset:         80
        .size:           8
        .value_kind:     by_value
      - .offset:         88
        .size:           8
        .value_kind:     by_value
      - .offset:         96
        .size:           8
        .value_kind:     by_value
      - .offset:         104
        .size:           8
        .value_kind:     by_value
      - .offset:         112
        .size:           1
        .value_kind:     by_value
      - .offset:         120
        .size:           4
        .value_kind:     hidden_block_count_x
      - .offset:         124
        .size:           4
        .value_kind:     hidden_block_count_y
      - .offset:         128
        .size:           4
        .value_kind:     hidden_block_count_z
      - .offset:         132
        .size:           2
        .value_kind:     hidden_group_size_x
      - .offset:         134
        .size:           2
        .value_kind:     hidden_group_size_y
      - .offset:         136
        .size:           2
        .value_kind:     hidden_group_size_z
      - .offset:         138
        .size:           2
        .value_kind:     hidden_remainder_x
      - .offset:         140
        .size:           2
        .value_kind:     hidden_remainder_y
      - .offset:         142
        .size:           2
        .value_kind:     hidden_remainder_z
      - .offset:         160
        .size:           8
        .value_kind:     hidden_global_offset_x
      - .offset:         168
        .size:           8
        .value_kind:     hidden_global_offset_y
      - .offset:         176
        .size:           8
        .value_kind:     hidden_global_offset_z
      - .offset:         184
        .size:           2
        .value_kind:     hidden_grid_dims
    .group_segment_fixed_size: 576
    .kernarg_segment_align: 8
    .kernarg_segment_size: 376
    .language:       OpenCL C
    .language_version:
      - 2
      - 0
    .max_flat_workgroup_size: 64
    .name:           _ZN9rocsparseL11bsrilu0_2_8ILj64ELj64ELj8EfEEv20rocsparse_direction_iPKiS3_PT2_S3_iPiS3_S6_21rocsparse_index_base_imNS_24const_host_device_scalarIfEENS8_IdEENS8_IS4_EEb
    .private_segment_fixed_size: 0
    .sgpr_count:     62
    .sgpr_spill_count: 0
    .symbol:         _ZN9rocsparseL11bsrilu0_2_8ILj64ELj64ELj8EfEEv20rocsparse_direction_iPKiS3_PT2_S3_iPiS3_S6_21rocsparse_index_base_imNS_24const_host_device_scalarIfEENS8_IdEENS8_IS4_EEb.kd
    .uniform_work_group_size: 1
    .uses_dynamic_stack: false
    .vgpr_count:     34
    .vgpr_spill_count: 0
    .wavefront_size: 64
  - .agpr_count:     0
    .args:
      - .offset:         0
        .size:           4
        .value_kind:     by_value
      - .offset:         4
        .size:           4
        .value_kind:     by_value
      - .address_space:  global
        .offset:         8
        .size:           8
        .value_kind:     global_buffer
      - .address_space:  global
        .offset:         16
        .size:           8
        .value_kind:     global_buffer
      - .address_space:  global
        .offset:         24
        .size:           8
        .value_kind:     global_buffer
      - .address_space:  global
        .offset:         32
        .size:           8
        .value_kind:     global_buffer
      - .offset:         40
        .size:           4
        .value_kind:     by_value
      - .address_space:  global
        .offset:         48
        .size:           8
        .value_kind:     global_buffer
      - .address_space:  global
        .offset:         56
        .size:           8
        .value_kind:     global_buffer
      - .address_space:  global
        .offset:         64
        .size:           8
        .value_kind:     global_buffer
      - .offset:         72
        .size:           4
        .value_kind:     by_value
      - .offset:         76
        .size:           4
        .value_kind:     by_value
      - .offset:         80
        .size:           8
        .value_kind:     by_value
      - .offset:         88
        .size:           8
        .value_kind:     by_value
      - .offset:         96
        .size:           8
        .value_kind:     by_value
      - .offset:         104
        .size:           8
        .value_kind:     by_value
      - .offset:         112
        .size:           1
        .value_kind:     by_value
    .group_segment_fixed_size: 2176
    .kernarg_segment_align: 8
    .kernarg_segment_size: 116
    .language:       OpenCL C
    .language_version:
      - 2
      - 0
    .max_flat_workgroup_size: 64
    .name:           _ZN9rocsparseL12bsrilu0_9_32ILj64ELj64ELj16EfEEv20rocsparse_direction_iPKiS3_PT2_S3_iPiS3_S6_21rocsparse_index_base_imNS_24const_host_device_scalarIfEENS8_IdEENS8_IS4_EEb
    .private_segment_fixed_size: 0
    .sgpr_count:     88
    .sgpr_spill_count: 0
    .symbol:         _ZN9rocsparseL12bsrilu0_9_32ILj64ELj64ELj16EfEEv20rocsparse_direction_iPKiS3_PT2_S3_iPiS3_S6_21rocsparse_index_base_imNS_24const_host_device_scalarIfEENS8_IdEENS8_IS4_EEb.kd
    .uniform_work_group_size: 1
    .uses_dynamic_stack: false
    .vgpr_count:     52
    .vgpr_spill_count: 0
    .wavefront_size: 64
  - .agpr_count:     0
    .args:
      - .offset:         0
        .size:           4
        .value_kind:     by_value
      - .offset:         4
        .size:           4
        .value_kind:     by_value
      - .address_space:  global
        .offset:         8
        .size:           8
        .value_kind:     global_buffer
      - .address_space:  global
        .offset:         16
        .size:           8
        .value_kind:     global_buffer
      - .address_space:  global
        .offset:         24
        .size:           8
        .value_kind:     global_buffer
      - .address_space:  global
        .offset:         32
        .size:           8
        .value_kind:     global_buffer
      - .offset:         40
        .size:           4
        .value_kind:     by_value
      - .address_space:  global
        .offset:         48
        .size:           8
        .value_kind:     global_buffer
      - .address_space:  global
        .offset:         56
        .size:           8
        .value_kind:     global_buffer
      - .address_space:  global
        .offset:         64
        .size:           8
        .value_kind:     global_buffer
      - .offset:         72
        .size:           4
        .value_kind:     by_value
      - .offset:         76
        .size:           4
        .value_kind:     by_value
      - .offset:         80
        .size:           8
        .value_kind:     by_value
      - .offset:         88
        .size:           8
        .value_kind:     by_value
      - .offset:         96
        .size:           8
        .value_kind:     by_value
      - .offset:         104
        .size:           8
        .value_kind:     by_value
      - .offset:         112
        .size:           1
        .value_kind:     by_value
    .group_segment_fixed_size: 8448
    .kernarg_segment_align: 8
    .kernarg_segment_size: 116
    .language:       OpenCL C
    .language_version:
      - 2
      - 0
    .max_flat_workgroup_size: 64
    .name:           _ZN9rocsparseL12bsrilu0_9_32ILj64ELj64ELj32EfEEv20rocsparse_direction_iPKiS3_PT2_S3_iPiS3_S6_21rocsparse_index_base_imNS_24const_host_device_scalarIfEENS8_IdEENS8_IS4_EEb
    .private_segment_fixed_size: 0
    .sgpr_count:     88
    .sgpr_spill_count: 0
    .symbol:         _ZN9rocsparseL12bsrilu0_9_32ILj64ELj64ELj32EfEEv20rocsparse_direction_iPKiS3_PT2_S3_iPiS3_S6_21rocsparse_index_base_imNS_24const_host_device_scalarIfEENS8_IdEENS8_IS4_EEb.kd
    .uniform_work_group_size: 1
    .uses_dynamic_stack: false
    .vgpr_count:     52
    .vgpr_spill_count: 0
    .wavefront_size: 64
  - .agpr_count:     0
    .args:
      - .offset:         0
        .size:           4
        .value_kind:     by_value
      - .offset:         4
        .size:           4
        .value_kind:     by_value
      - .address_space:  global
        .offset:         8
        .size:           8
        .value_kind:     global_buffer
      - .address_space:  global
        .offset:         16
        .size:           8
        .value_kind:     global_buffer
      - .address_space:  global
        .offset:         24
        .size:           8
        .value_kind:     global_buffer
      - .address_space:  global
        .offset:         32
        .size:           8
        .value_kind:     global_buffer
      - .offset:         40
        .size:           4
        .value_kind:     by_value
      - .address_space:  global
        .offset:         48
        .size:           8
        .value_kind:     global_buffer
      - .address_space:  global
        .offset:         56
        .size:           8
        .value_kind:     global_buffer
      - .address_space:  global
        .offset:         64
        .size:           8
        .value_kind:     global_buffer
      - .offset:         72
        .size:           4
        .value_kind:     by_value
      - .offset:         76
        .size:           4
        .value_kind:     by_value
      - .offset:         80
        .size:           8
        .value_kind:     by_value
      - .offset:         88
        .size:           8
        .value_kind:     by_value
      - .offset:         96
        .size:           8
        .value_kind:     by_value
      - .offset:         104
        .size:           8
        .value_kind:     by_value
      - .offset:         112
        .size:           1
        .value_kind:     by_value
    .group_segment_fixed_size: 16640
    .kernarg_segment_align: 8
    .kernarg_segment_size: 116
    .language:       OpenCL C
    .language_version:
      - 2
      - 0
    .max_flat_workgroup_size: 64
    .name:           _ZN9rocsparseL13bsrilu0_33_64ILj64ELj64ELj64EfEEv20rocsparse_direction_iPKiS3_PT2_S3_iPiS3_S6_21rocsparse_index_base_imNS_24const_host_device_scalarIfEENS8_IdEENS8_IS4_EEb
    .private_segment_fixed_size: 0
    .sgpr_count:     80
    .sgpr_spill_count: 0
    .symbol:         _ZN9rocsparseL13bsrilu0_33_64ILj64ELj64ELj64EfEEv20rocsparse_direction_iPKiS3_PT2_S3_iPiS3_S6_21rocsparse_index_base_imNS_24const_host_device_scalarIfEENS8_IdEENS8_IS4_EEb.kd
    .uniform_work_group_size: 1
    .uses_dynamic_stack: false
    .vgpr_count:     50
    .vgpr_spill_count: 0
    .wavefront_size: 64
  - .agpr_count:     0
    .args:
      - .offset:         0
        .size:           4
        .value_kind:     by_value
      - .offset:         4
        .size:           4
        .value_kind:     by_value
      - .address_space:  global
        .offset:         8
        .size:           8
        .value_kind:     global_buffer
      - .address_space:  global
        .offset:         16
        .size:           8
        .value_kind:     global_buffer
      - .address_space:  global
        .offset:         24
        .size:           8
        .value_kind:     global_buffer
      - .address_space:  global
        .offset:         32
        .size:           8
        .value_kind:     global_buffer
      - .offset:         40
        .size:           4
        .value_kind:     by_value
      - .address_space:  global
        .offset:         48
        .size:           8
        .value_kind:     global_buffer
      - .address_space:  global
        .offset:         56
        .size:           8
        .value_kind:     global_buffer
      - .address_space:  global
        .offset:         64
        .size:           8
        .value_kind:     global_buffer
      - .offset:         72
        .size:           4
        .value_kind:     by_value
      - .offset:         76
        .size:           4
        .value_kind:     by_value
      - .offset:         80
        .size:           8
        .value_kind:     by_value
      - .offset:         88
        .size:           8
        .value_kind:     by_value
      - .offset:         96
        .size:           8
        .value_kind:     by_value
      - .offset:         104
        .size:           8
        .value_kind:     by_value
      - .offset:         112
        .size:           1
        .value_kind:     by_value
    .group_segment_fixed_size: 0
    .kernarg_segment_align: 8
    .kernarg_segment_size: 116
    .language:       OpenCL C
    .language_version:
      - 2
      - 0
    .max_flat_workgroup_size: 128
    .name:           _ZN9rocsparseL15bsrilu0_generalILj128ELj64ELb0EfEEv20rocsparse_direction_iPKiS3_PT2_S3_iPiS3_S6_21rocsparse_index_base_imNS_24const_host_device_scalarIfEENS8_IdEENS8_IS4_EEb
    .private_segment_fixed_size: 0
    .sgpr_count:     69
    .sgpr_spill_count: 0
    .symbol:         _ZN9rocsparseL15bsrilu0_generalILj128ELj64ELb0EfEEv20rocsparse_direction_iPKiS3_PT2_S3_iPiS3_S6_21rocsparse_index_base_imNS_24const_host_device_scalarIfEENS8_IdEENS8_IS4_EEb.kd
    .uniform_work_group_size: 1
    .uses_dynamic_stack: false
    .vgpr_count:     37
    .vgpr_spill_count: 0
    .wavefront_size: 64
  - .agpr_count:     0
    .args:
      - .offset:         0
        .size:           4
        .value_kind:     by_value
      - .offset:         4
        .size:           4
        .value_kind:     by_value
      - .address_space:  global
        .offset:         8
        .size:           8
        .value_kind:     global_buffer
      - .address_space:  global
        .offset:         16
        .size:           8
        .value_kind:     global_buffer
      - .address_space:  global
        .offset:         24
        .size:           8
        .value_kind:     global_buffer
      - .address_space:  global
        .offset:         32
        .size:           8
        .value_kind:     global_buffer
      - .offset:         40
        .size:           4
        .value_kind:     by_value
      - .address_space:  global
        .offset:         48
        .size:           8
        .value_kind:     global_buffer
      - .address_space:  global
        .offset:         56
        .size:           8
        .value_kind:     global_buffer
      - .address_space:  global
        .offset:         64
        .size:           8
        .value_kind:     global_buffer
      - .offset:         72
        .size:           4
        .value_kind:     by_value
      - .offset:         76
        .size:           4
        .value_kind:     by_value
      - .offset:         80
        .size:           8
        .value_kind:     by_value
      - .offset:         88
        .size:           8
        .value_kind:     by_value
      - .offset:         96
        .size:           8
        .value_kind:     by_value
      - .offset:         104
        .size:           8
        .value_kind:     by_value
      - .offset:         112
        .size:           1
        .value_kind:     by_value
    .group_segment_fixed_size: 0
    .kernarg_segment_align: 8
    .kernarg_segment_size: 116
    .language:       OpenCL C
    .language_version:
      - 2
      - 0
    .max_flat_workgroup_size: 128
    .name:           _ZN9rocsparseL15bsrilu0_generalILj128ELj64ELb1EdEEv20rocsparse_direction_iPKiS3_PT2_S3_iPiS3_S6_21rocsparse_index_base_imNS_24const_host_device_scalarIfEENS8_IdEENS8_IS4_EEb
    .private_segment_fixed_size: 0
    .sgpr_count:     69
    .sgpr_spill_count: 0
    .symbol:         _ZN9rocsparseL15bsrilu0_generalILj128ELj64ELb1EdEEv20rocsparse_direction_iPKiS3_PT2_S3_iPiS3_S6_21rocsparse_index_base_imNS_24const_host_device_scalarIfEENS8_IdEENS8_IS4_EEb.kd
    .uniform_work_group_size: 1
    .uses_dynamic_stack: false
    .vgpr_count:     44
    .vgpr_spill_count: 0
    .wavefront_size: 64
  - .agpr_count:     0
    .args:
      - .offset:         0
        .size:           4
        .value_kind:     by_value
      - .offset:         4
        .size:           4
        .value_kind:     by_value
      - .address_space:  global
        .offset:         8
        .size:           8
        .value_kind:     global_buffer
      - .address_space:  global
        .offset:         16
        .size:           8
        .value_kind:     global_buffer
      - .address_space:  global
        .offset:         24
        .size:           8
        .value_kind:     global_buffer
      - .address_space:  global
        .offset:         32
        .size:           8
        .value_kind:     global_buffer
      - .offset:         40
        .size:           4
        .value_kind:     by_value
      - .address_space:  global
        .offset:         48
        .size:           8
        .value_kind:     global_buffer
      - .address_space:  global
        .offset:         56
        .size:           8
        .value_kind:     global_buffer
      - .address_space:  global
        .offset:         64
        .size:           8
        .value_kind:     global_buffer
      - .offset:         72
        .size:           4
        .value_kind:     by_value
      - .offset:         76
        .size:           4
        .value_kind:     by_value
      - .offset:         80
        .size:           8
        .value_kind:     by_value
      - .offset:         88
        .size:           8
        .value_kind:     by_value
      - .offset:         96
        .size:           8
        .value_kind:     by_value
      - .offset:         104
        .size:           8
        .value_kind:     by_value
      - .offset:         112
        .size:           1
        .value_kind:     by_value
    .group_segment_fixed_size: 0
    .kernarg_segment_align: 8
    .kernarg_segment_size: 116
    .language:       OpenCL C
    .language_version:
      - 2
      - 0
    .max_flat_workgroup_size: 128
    .name:           _ZN9rocsparseL15bsrilu0_generalILj128ELj32ELb0EdEEv20rocsparse_direction_iPKiS3_PT2_S3_iPiS3_S6_21rocsparse_index_base_imNS_24const_host_device_scalarIfEENS8_IdEENS8_IS4_EEb
    .private_segment_fixed_size: 0
    .sgpr_count:     69
    .sgpr_spill_count: 0
    .symbol:         _ZN9rocsparseL15bsrilu0_generalILj128ELj32ELb0EdEEv20rocsparse_direction_iPKiS3_PT2_S3_iPiS3_S6_21rocsparse_index_base_imNS_24const_host_device_scalarIfEENS8_IdEENS8_IS4_EEb.kd
    .uniform_work_group_size: 1
    .uses_dynamic_stack: false
    .vgpr_count:     44
    .vgpr_spill_count: 0
    .wavefront_size: 64
  - .agpr_count:     0
    .args:
      - .offset:         0
        .size:           4
        .value_kind:     by_value
      - .offset:         4
        .size:           4
        .value_kind:     by_value
      - .address_space:  global
        .offset:         8
        .size:           8
        .value_kind:     global_buffer
      - .address_space:  global
        .offset:         16
        .size:           8
        .value_kind:     global_buffer
      - .address_space:  global
        .offset:         24
        .size:           8
        .value_kind:     global_buffer
      - .address_space:  global
        .offset:         32
        .size:           8
        .value_kind:     global_buffer
      - .offset:         40
        .size:           4
        .value_kind:     by_value
      - .address_space:  global
        .offset:         48
        .size:           8
        .value_kind:     global_buffer
      - .address_space:  global
        .offset:         56
        .size:           8
        .value_kind:     global_buffer
      - .address_space:  global
        .offset:         64
        .size:           8
        .value_kind:     global_buffer
      - .offset:         72
        .size:           4
        .value_kind:     by_value
      - .offset:         76
        .size:           4
        .value_kind:     by_value
      - .offset:         80
        .size:           8
        .value_kind:     by_value
      - .offset:         88
        .size:           8
        .value_kind:     by_value
      - .offset:         96
        .size:           8
        .value_kind:     by_value
      - .offset:         104
        .size:           8
        .value_kind:     by_value
      - .offset:         112
        .size:           1
        .value_kind:     by_value
      - .offset:         120
        .size:           4
        .value_kind:     hidden_block_count_x
      - .offset:         124
        .size:           4
        .value_kind:     hidden_block_count_y
      - .offset:         128
        .size:           4
        .value_kind:     hidden_block_count_z
      - .offset:         132
        .size:           2
        .value_kind:     hidden_group_size_x
      - .offset:         134
        .size:           2
        .value_kind:     hidden_group_size_y
      - .offset:         136
        .size:           2
        .value_kind:     hidden_group_size_z
      - .offset:         138
        .size:           2
        .value_kind:     hidden_remainder_x
      - .offset:         140
        .size:           2
        .value_kind:     hidden_remainder_y
      - .offset:         142
        .size:           2
        .value_kind:     hidden_remainder_z
      - .offset:         160
        .size:           8
        .value_kind:     hidden_global_offset_x
      - .offset:         168
        .size:           8
        .value_kind:     hidden_global_offset_y
      - .offset:         176
        .size:           8
        .value_kind:     hidden_global_offset_z
      - .offset:         184
        .size:           2
        .value_kind:     hidden_grid_dims
    .group_segment_fixed_size: 1152
    .kernarg_segment_align: 8
    .kernarg_segment_size: 376
    .language:       OpenCL C
    .language_version:
      - 2
      - 0
    .max_flat_workgroup_size: 64
    .name:           _ZN9rocsparseL11bsrilu0_2_8ILj64ELj64ELj8EdEEv20rocsparse_direction_iPKiS3_PT2_S3_iPiS3_S6_21rocsparse_index_base_imNS_24const_host_device_scalarIfEENS8_IdEENS8_IS4_EEb
    .private_segment_fixed_size: 0
    .sgpr_count:     64
    .sgpr_spill_count: 0
    .symbol:         _ZN9rocsparseL11bsrilu0_2_8ILj64ELj64ELj8EdEEv20rocsparse_direction_iPKiS3_PT2_S3_iPiS3_S6_21rocsparse_index_base_imNS_24const_host_device_scalarIfEENS8_IdEENS8_IS4_EEb.kd
    .uniform_work_group_size: 1
    .uses_dynamic_stack: false
    .vgpr_count:     42
    .vgpr_spill_count: 0
    .wavefront_size: 64
  - .agpr_count:     0
    .args:
      - .offset:         0
        .size:           4
        .value_kind:     by_value
      - .offset:         4
        .size:           4
        .value_kind:     by_value
      - .address_space:  global
        .offset:         8
        .size:           8
        .value_kind:     global_buffer
      - .address_space:  global
        .offset:         16
        .size:           8
        .value_kind:     global_buffer
      - .address_space:  global
        .offset:         24
        .size:           8
        .value_kind:     global_buffer
      - .address_space:  global
        .offset:         32
        .size:           8
        .value_kind:     global_buffer
      - .offset:         40
        .size:           4
        .value_kind:     by_value
      - .address_space:  global
        .offset:         48
        .size:           8
        .value_kind:     global_buffer
      - .address_space:  global
        .offset:         56
        .size:           8
        .value_kind:     global_buffer
      - .address_space:  global
        .offset:         64
        .size:           8
        .value_kind:     global_buffer
      - .offset:         72
        .size:           4
        .value_kind:     by_value
      - .offset:         76
        .size:           4
        .value_kind:     by_value
      - .offset:         80
        .size:           8
        .value_kind:     by_value
      - .offset:         88
        .size:           8
        .value_kind:     by_value
      - .offset:         96
        .size:           8
        .value_kind:     by_value
      - .offset:         104
        .size:           8
        .value_kind:     by_value
      - .offset:         112
        .size:           1
        .value_kind:     by_value
    .group_segment_fixed_size: 4352
    .kernarg_segment_align: 8
    .kernarg_segment_size: 116
    .language:       OpenCL C
    .language_version:
      - 2
      - 0
    .max_flat_workgroup_size: 64
    .name:           _ZN9rocsparseL12bsrilu0_9_32ILj64ELj64ELj16EdEEv20rocsparse_direction_iPKiS3_PT2_S3_iPiS3_S6_21rocsparse_index_base_imNS_24const_host_device_scalarIfEENS8_IdEENS8_IS4_EEb
    .private_segment_fixed_size: 0
    .sgpr_count:     74
    .sgpr_spill_count: 0
    .symbol:         _ZN9rocsparseL12bsrilu0_9_32ILj64ELj64ELj16EdEEv20rocsparse_direction_iPKiS3_PT2_S3_iPiS3_S6_21rocsparse_index_base_imNS_24const_host_device_scalarIfEENS8_IdEENS8_IS4_EEb.kd
    .uniform_work_group_size: 1
    .uses_dynamic_stack: false
    .vgpr_count:     44
    .vgpr_spill_count: 0
    .wavefront_size: 64
  - .agpr_count:     0
    .args:
      - .offset:         0
        .size:           4
        .value_kind:     by_value
      - .offset:         4
        .size:           4
        .value_kind:     by_value
      - .address_space:  global
        .offset:         8
        .size:           8
        .value_kind:     global_buffer
      - .address_space:  global
        .offset:         16
        .size:           8
        .value_kind:     global_buffer
      - .address_space:  global
        .offset:         24
        .size:           8
        .value_kind:     global_buffer
      - .address_space:  global
        .offset:         32
        .size:           8
        .value_kind:     global_buffer
      - .offset:         40
        .size:           4
        .value_kind:     by_value
      - .address_space:  global
        .offset:         48
        .size:           8
        .value_kind:     global_buffer
      - .address_space:  global
        .offset:         56
        .size:           8
        .value_kind:     global_buffer
      - .address_space:  global
        .offset:         64
        .size:           8
        .value_kind:     global_buffer
      - .offset:         72
        .size:           4
        .value_kind:     by_value
      - .offset:         76
        .size:           4
        .value_kind:     by_value
      - .offset:         80
        .size:           8
        .value_kind:     by_value
      - .offset:         88
        .size:           8
        .value_kind:     by_value
      - .offset:         96
        .size:           8
        .value_kind:     by_value
      - .offset:         104
        .size:           8
        .value_kind:     by_value
      - .offset:         112
        .size:           1
        .value_kind:     by_value
    .group_segment_fixed_size: 16896
    .kernarg_segment_align: 8
    .kernarg_segment_size: 116
    .language:       OpenCL C
    .language_version:
      - 2
      - 0
    .max_flat_workgroup_size: 64
    .name:           _ZN9rocsparseL12bsrilu0_9_32ILj64ELj64ELj32EdEEv20rocsparse_direction_iPKiS3_PT2_S3_iPiS3_S6_21rocsparse_index_base_imNS_24const_host_device_scalarIfEENS8_IdEENS8_IS4_EEb
    .private_segment_fixed_size: 0
    .sgpr_count:     74
    .sgpr_spill_count: 0
    .symbol:         _ZN9rocsparseL12bsrilu0_9_32ILj64ELj64ELj32EdEEv20rocsparse_direction_iPKiS3_PT2_S3_iPiS3_S6_21rocsparse_index_base_imNS_24const_host_device_scalarIfEENS8_IdEENS8_IS4_EEb.kd
    .uniform_work_group_size: 1
    .uses_dynamic_stack: false
    .vgpr_count:     44
    .vgpr_spill_count: 0
    .wavefront_size: 64
  - .agpr_count:     0
    .args:
      - .offset:         0
        .size:           4
        .value_kind:     by_value
      - .offset:         4
        .size:           4
        .value_kind:     by_value
      - .address_space:  global
        .offset:         8
        .size:           8
        .value_kind:     global_buffer
      - .address_space:  global
        .offset:         16
        .size:           8
        .value_kind:     global_buffer
      - .address_space:  global
        .offset:         24
        .size:           8
        .value_kind:     global_buffer
      - .address_space:  global
        .offset:         32
        .size:           8
        .value_kind:     global_buffer
      - .offset:         40
        .size:           4
        .value_kind:     by_value
      - .address_space:  global
        .offset:         48
        .size:           8
        .value_kind:     global_buffer
      - .address_space:  global
        .offset:         56
        .size:           8
        .value_kind:     global_buffer
      - .address_space:  global
        .offset:         64
        .size:           8
        .value_kind:     global_buffer
      - .offset:         72
        .size:           4
        .value_kind:     by_value
      - .offset:         76
        .size:           4
        .value_kind:     by_value
      - .offset:         80
        .size:           8
        .value_kind:     by_value
      - .offset:         88
        .size:           8
        .value_kind:     by_value
      - .offset:         96
        .size:           8
        .value_kind:     by_value
      - .offset:         104
        .size:           8
        .value_kind:     by_value
      - .offset:         112
        .size:           1
        .value_kind:     by_value
    .group_segment_fixed_size: 33280
    .kernarg_segment_align: 8
    .kernarg_segment_size: 116
    .language:       OpenCL C
    .language_version:
      - 2
      - 0
    .max_flat_workgroup_size: 64
    .name:           _ZN9rocsparseL13bsrilu0_33_64ILj64ELj64ELj64EdEEv20rocsparse_direction_iPKiS3_PT2_S3_iPiS3_S6_21rocsparse_index_base_imNS_24const_host_device_scalarIfEENS8_IdEENS8_IS4_EEb
    .private_segment_fixed_size: 0
    .sgpr_count:     72
    .sgpr_spill_count: 0
    .symbol:         _ZN9rocsparseL13bsrilu0_33_64ILj64ELj64ELj64EdEEv20rocsparse_direction_iPKiS3_PT2_S3_iPiS3_S6_21rocsparse_index_base_imNS_24const_host_device_scalarIfEENS8_IdEENS8_IS4_EEb.kd
    .uniform_work_group_size: 1
    .uses_dynamic_stack: false
    .vgpr_count:     39
    .vgpr_spill_count: 0
    .wavefront_size: 64
  - .agpr_count:     0
    .args:
      - .offset:         0
        .size:           4
        .value_kind:     by_value
      - .offset:         4
        .size:           4
        .value_kind:     by_value
      - .address_space:  global
        .offset:         8
        .size:           8
        .value_kind:     global_buffer
      - .address_space:  global
        .offset:         16
        .size:           8
        .value_kind:     global_buffer
      - .address_space:  global
        .offset:         24
        .size:           8
        .value_kind:     global_buffer
      - .address_space:  global
        .offset:         32
        .size:           8
        .value_kind:     global_buffer
      - .offset:         40
        .size:           4
        .value_kind:     by_value
      - .address_space:  global
        .offset:         48
        .size:           8
        .value_kind:     global_buffer
      - .address_space:  global
        .offset:         56
        .size:           8
        .value_kind:     global_buffer
      - .address_space:  global
        .offset:         64
        .size:           8
        .value_kind:     global_buffer
      - .offset:         72
        .size:           4
        .value_kind:     by_value
      - .offset:         76
        .size:           4
        .value_kind:     by_value
      - .offset:         80
        .size:           8
        .value_kind:     by_value
      - .offset:         88
        .size:           8
        .value_kind:     by_value
      - .offset:         96
        .size:           8
        .value_kind:     by_value
      - .offset:         104
        .size:           8
        .value_kind:     by_value
      - .offset:         112
        .size:           1
        .value_kind:     by_value
    .group_segment_fixed_size: 0
    .kernarg_segment_align: 8
    .kernarg_segment_size: 116
    .language:       OpenCL C
    .language_version:
      - 2
      - 0
    .max_flat_workgroup_size: 128
    .name:           _ZN9rocsparseL15bsrilu0_generalILj128ELj64ELb0EdEEv20rocsparse_direction_iPKiS3_PT2_S3_iPiS3_S6_21rocsparse_index_base_imNS_24const_host_device_scalarIfEENS8_IdEENS8_IS4_EEb
    .private_segment_fixed_size: 0
    .sgpr_count:     69
    .sgpr_spill_count: 0
    .symbol:         _ZN9rocsparseL15bsrilu0_generalILj128ELj64ELb0EdEEv20rocsparse_direction_iPKiS3_PT2_S3_iPiS3_S6_21rocsparse_index_base_imNS_24const_host_device_scalarIfEENS8_IdEENS8_IS4_EEb.kd
    .uniform_work_group_size: 1
    .uses_dynamic_stack: false
    .vgpr_count:     44
    .vgpr_spill_count: 0
    .wavefront_size: 64
  - .agpr_count:     0
    .args:
      - .offset:         0
        .size:           4
        .value_kind:     by_value
      - .offset:         4
        .size:           4
        .value_kind:     by_value
      - .address_space:  global
        .offset:         8
        .size:           8
        .value_kind:     global_buffer
      - .address_space:  global
        .offset:         16
        .size:           8
        .value_kind:     global_buffer
      - .address_space:  global
        .offset:         24
        .size:           8
        .value_kind:     global_buffer
      - .address_space:  global
        .offset:         32
        .size:           8
        .value_kind:     global_buffer
      - .offset:         40
        .size:           4
        .value_kind:     by_value
      - .address_space:  global
        .offset:         48
        .size:           8
        .value_kind:     global_buffer
      - .address_space:  global
        .offset:         56
        .size:           8
        .value_kind:     global_buffer
      - .address_space:  global
        .offset:         64
        .size:           8
        .value_kind:     global_buffer
      - .offset:         72
        .size:           4
        .value_kind:     by_value
      - .offset:         76
        .size:           4
        .value_kind:     by_value
      - .offset:         80
        .size:           8
        .value_kind:     by_value
      - .offset:         88
        .size:           8
        .value_kind:     by_value
      - .offset:         96
        .size:           8
        .value_kind:     by_value
      - .offset:         104
        .size:           8
        .value_kind:     by_value
      - .offset:         112
        .size:           1
        .value_kind:     by_value
    .group_segment_fixed_size: 0
    .kernarg_segment_align: 8
    .kernarg_segment_size: 116
    .language:       OpenCL C
    .language_version:
      - 2
      - 0
    .max_flat_workgroup_size: 128
    .name:           _ZN9rocsparseL15bsrilu0_generalILj128ELj64ELb1E21rocsparse_complex_numIfEEEv20rocsparse_direction_iPKiS5_PT2_S5_iPiS5_S8_21rocsparse_index_base_imNS_24const_host_device_scalarIfEENSA_IdEENSA_IS6_EEb
    .private_segment_fixed_size: 0
    .sgpr_count:     71
    .sgpr_spill_count: 0
    .symbol:         _ZN9rocsparseL15bsrilu0_generalILj128ELj64ELb1E21rocsparse_complex_numIfEEEv20rocsparse_direction_iPKiS5_PT2_S5_iPiS5_S8_21rocsparse_index_base_imNS_24const_host_device_scalarIfEENSA_IdEENSA_IS6_EEb.kd
    .uniform_work_group_size: 1
    .uses_dynamic_stack: false
    .vgpr_count:     45
    .vgpr_spill_count: 0
    .wavefront_size: 64
  - .agpr_count:     0
    .args:
      - .offset:         0
        .size:           4
        .value_kind:     by_value
      - .offset:         4
        .size:           4
        .value_kind:     by_value
      - .address_space:  global
        .offset:         8
        .size:           8
        .value_kind:     global_buffer
      - .address_space:  global
        .offset:         16
        .size:           8
        .value_kind:     global_buffer
      - .address_space:  global
        .offset:         24
        .size:           8
        .value_kind:     global_buffer
      - .address_space:  global
        .offset:         32
        .size:           8
        .value_kind:     global_buffer
      - .offset:         40
        .size:           4
        .value_kind:     by_value
      - .address_space:  global
        .offset:         48
        .size:           8
        .value_kind:     global_buffer
      - .address_space:  global
        .offset:         56
        .size:           8
        .value_kind:     global_buffer
      - .address_space:  global
        .offset:         64
        .size:           8
        .value_kind:     global_buffer
      - .offset:         72
        .size:           4
        .value_kind:     by_value
      - .offset:         76
        .size:           4
        .value_kind:     by_value
      - .offset:         80
        .size:           8
        .value_kind:     by_value
      - .offset:         88
        .size:           8
        .value_kind:     by_value
      - .offset:         96
        .size:           8
        .value_kind:     by_value
      - .offset:         104
        .size:           8
        .value_kind:     by_value
      - .offset:         112
        .size:           1
        .value_kind:     by_value
    .group_segment_fixed_size: 0
    .kernarg_segment_align: 8
    .kernarg_segment_size: 116
    .language:       OpenCL C
    .language_version:
      - 2
      - 0
    .max_flat_workgroup_size: 128
    .name:           _ZN9rocsparseL15bsrilu0_generalILj128ELj32ELb0E21rocsparse_complex_numIfEEEv20rocsparse_direction_iPKiS5_PT2_S5_iPiS5_S8_21rocsparse_index_base_imNS_24const_host_device_scalarIfEENSA_IdEENSA_IS6_EEb
    .private_segment_fixed_size: 0
    .sgpr_count:     71
    .sgpr_spill_count: 0
    .symbol:         _ZN9rocsparseL15bsrilu0_generalILj128ELj32ELb0E21rocsparse_complex_numIfEEEv20rocsparse_direction_iPKiS5_PT2_S5_iPiS5_S8_21rocsparse_index_base_imNS_24const_host_device_scalarIfEENSA_IdEENSA_IS6_EEb.kd
    .uniform_work_group_size: 1
    .uses_dynamic_stack: false
    .vgpr_count:     45
    .vgpr_spill_count: 0
    .wavefront_size: 64
  - .agpr_count:     0
    .args:
      - .offset:         0
        .size:           4
        .value_kind:     by_value
      - .offset:         4
        .size:           4
        .value_kind:     by_value
      - .address_space:  global
        .offset:         8
        .size:           8
        .value_kind:     global_buffer
      - .address_space:  global
        .offset:         16
        .size:           8
        .value_kind:     global_buffer
      - .address_space:  global
        .offset:         24
        .size:           8
        .value_kind:     global_buffer
      - .address_space:  global
        .offset:         32
        .size:           8
        .value_kind:     global_buffer
      - .offset:         40
        .size:           4
        .value_kind:     by_value
      - .address_space:  global
        .offset:         48
        .size:           8
        .value_kind:     global_buffer
      - .address_space:  global
        .offset:         56
        .size:           8
        .value_kind:     global_buffer
      - .address_space:  global
        .offset:         64
        .size:           8
        .value_kind:     global_buffer
      - .offset:         72
        .size:           4
        .value_kind:     by_value
      - .offset:         76
        .size:           4
        .value_kind:     by_value
      - .offset:         80
        .size:           8
        .value_kind:     by_value
      - .offset:         88
        .size:           8
        .value_kind:     by_value
      - .offset:         96
        .size:           8
        .value_kind:     by_value
      - .offset:         104
        .size:           8
        .value_kind:     by_value
      - .offset:         112
        .size:           1
        .value_kind:     by_value
      - .offset:         120
        .size:           4
        .value_kind:     hidden_block_count_x
      - .offset:         124
        .size:           4
        .value_kind:     hidden_block_count_y
      - .offset:         128
        .size:           4
        .value_kind:     hidden_block_count_z
      - .offset:         132
        .size:           2
        .value_kind:     hidden_group_size_x
      - .offset:         134
        .size:           2
        .value_kind:     hidden_group_size_y
      - .offset:         136
        .size:           2
        .value_kind:     hidden_group_size_z
      - .offset:         138
        .size:           2
        .value_kind:     hidden_remainder_x
      - .offset:         140
        .size:           2
        .value_kind:     hidden_remainder_y
      - .offset:         142
        .size:           2
        .value_kind:     hidden_remainder_z
      - .offset:         160
        .size:           8
        .value_kind:     hidden_global_offset_x
      - .offset:         168
        .size:           8
        .value_kind:     hidden_global_offset_y
      - .offset:         176
        .size:           8
        .value_kind:     hidden_global_offset_z
      - .offset:         184
        .size:           2
        .value_kind:     hidden_grid_dims
    .group_segment_fixed_size: 1152
    .kernarg_segment_align: 8
    .kernarg_segment_size: 376
    .language:       OpenCL C
    .language_version:
      - 2
      - 0
    .max_flat_workgroup_size: 64
    .name:           _ZN9rocsparseL11bsrilu0_2_8ILj64ELj64ELj8E21rocsparse_complex_numIfEEEv20rocsparse_direction_iPKiS5_PT2_S5_iPiS5_S8_21rocsparse_index_base_imNS_24const_host_device_scalarIfEENSA_IdEENSA_IS6_EEb
    .private_segment_fixed_size: 0
    .sgpr_count:     66
    .sgpr_spill_count: 0
    .symbol:         _ZN9rocsparseL11bsrilu0_2_8ILj64ELj64ELj8E21rocsparse_complex_numIfEEEv20rocsparse_direction_iPKiS5_PT2_S5_iPiS5_S8_21rocsparse_index_base_imNS_24const_host_device_scalarIfEENSA_IdEENSA_IS6_EEb.kd
    .uniform_work_group_size: 1
    .uses_dynamic_stack: false
    .vgpr_count:     39
    .vgpr_spill_count: 0
    .wavefront_size: 64
  - .agpr_count:     0
    .args:
      - .offset:         0
        .size:           4
        .value_kind:     by_value
      - .offset:         4
        .size:           4
        .value_kind:     by_value
      - .address_space:  global
        .offset:         8
        .size:           8
        .value_kind:     global_buffer
      - .address_space:  global
        .offset:         16
        .size:           8
        .value_kind:     global_buffer
      - .address_space:  global
        .offset:         24
        .size:           8
        .value_kind:     global_buffer
      - .address_space:  global
        .offset:         32
        .size:           8
        .value_kind:     global_buffer
      - .offset:         40
        .size:           4
        .value_kind:     by_value
      - .address_space:  global
        .offset:         48
        .size:           8
        .value_kind:     global_buffer
      - .address_space:  global
        .offset:         56
        .size:           8
        .value_kind:     global_buffer
      - .address_space:  global
        .offset:         64
        .size:           8
        .value_kind:     global_buffer
      - .offset:         72
        .size:           4
        .value_kind:     by_value
      - .offset:         76
        .size:           4
        .value_kind:     by_value
      - .offset:         80
        .size:           8
        .value_kind:     by_value
      - .offset:         88
        .size:           8
        .value_kind:     by_value
      - .offset:         96
        .size:           8
        .value_kind:     by_value
      - .offset:         104
        .size:           8
        .value_kind:     by_value
      - .offset:         112
        .size:           1
        .value_kind:     by_value
    .group_segment_fixed_size: 4352
    .kernarg_segment_align: 8
    .kernarg_segment_size: 116
    .language:       OpenCL C
    .language_version:
      - 2
      - 0
    .max_flat_workgroup_size: 64
    .name:           _ZN9rocsparseL12bsrilu0_9_32ILj64ELj64ELj16E21rocsparse_complex_numIfEEEv20rocsparse_direction_iPKiS5_PT2_S5_iPiS5_S8_21rocsparse_index_base_imNS_24const_host_device_scalarIfEENSA_IdEENSA_IS6_EEb
    .private_segment_fixed_size: 0
    .sgpr_count:     87
    .sgpr_spill_count: 0
    .symbol:         _ZN9rocsparseL12bsrilu0_9_32ILj64ELj64ELj16E21rocsparse_complex_numIfEEEv20rocsparse_direction_iPKiS5_PT2_S5_iPiS5_S8_21rocsparse_index_base_imNS_24const_host_device_scalarIfEENSA_IdEENSA_IS6_EEb.kd
    .uniform_work_group_size: 1
    .uses_dynamic_stack: false
    .vgpr_count:     60
    .vgpr_spill_count: 0
    .wavefront_size: 64
  - .agpr_count:     0
    .args:
      - .offset:         0
        .size:           4
        .value_kind:     by_value
      - .offset:         4
        .size:           4
        .value_kind:     by_value
      - .address_space:  global
        .offset:         8
        .size:           8
        .value_kind:     global_buffer
      - .address_space:  global
        .offset:         16
        .size:           8
        .value_kind:     global_buffer
      - .address_space:  global
        .offset:         24
        .size:           8
        .value_kind:     global_buffer
      - .address_space:  global
        .offset:         32
        .size:           8
        .value_kind:     global_buffer
      - .offset:         40
        .size:           4
        .value_kind:     by_value
      - .address_space:  global
        .offset:         48
        .size:           8
        .value_kind:     global_buffer
      - .address_space:  global
        .offset:         56
        .size:           8
        .value_kind:     global_buffer
      - .address_space:  global
        .offset:         64
        .size:           8
        .value_kind:     global_buffer
      - .offset:         72
        .size:           4
        .value_kind:     by_value
      - .offset:         76
        .size:           4
        .value_kind:     by_value
      - .offset:         80
        .size:           8
        .value_kind:     by_value
      - .offset:         88
        .size:           8
        .value_kind:     by_value
      - .offset:         96
        .size:           8
        .value_kind:     by_value
      - .offset:         104
        .size:           8
        .value_kind:     by_value
      - .offset:         112
        .size:           1
        .value_kind:     by_value
    .group_segment_fixed_size: 16896
    .kernarg_segment_align: 8
    .kernarg_segment_size: 116
    .language:       OpenCL C
    .language_version:
      - 2
      - 0
    .max_flat_workgroup_size: 64
    .name:           _ZN9rocsparseL12bsrilu0_9_32ILj64ELj64ELj32E21rocsparse_complex_numIfEEEv20rocsparse_direction_iPKiS5_PT2_S5_iPiS5_S8_21rocsparse_index_base_imNS_24const_host_device_scalarIfEENSA_IdEENSA_IS6_EEb
    .private_segment_fixed_size: 0
    .sgpr_count:     85
    .sgpr_spill_count: 0
    .symbol:         _ZN9rocsparseL12bsrilu0_9_32ILj64ELj64ELj32E21rocsparse_complex_numIfEEEv20rocsparse_direction_iPKiS5_PT2_S5_iPiS5_S8_21rocsparse_index_base_imNS_24const_host_device_scalarIfEENSA_IdEENSA_IS6_EEb.kd
    .uniform_work_group_size: 1
    .uses_dynamic_stack: false
    .vgpr_count:     60
    .vgpr_spill_count: 0
    .wavefront_size: 64
  - .agpr_count:     0
    .args:
      - .offset:         0
        .size:           4
        .value_kind:     by_value
      - .offset:         4
        .size:           4
        .value_kind:     by_value
      - .address_space:  global
        .offset:         8
        .size:           8
        .value_kind:     global_buffer
      - .address_space:  global
        .offset:         16
        .size:           8
        .value_kind:     global_buffer
      - .address_space:  global
        .offset:         24
        .size:           8
        .value_kind:     global_buffer
      - .address_space:  global
        .offset:         32
        .size:           8
        .value_kind:     global_buffer
      - .offset:         40
        .size:           4
        .value_kind:     by_value
      - .address_space:  global
        .offset:         48
        .size:           8
        .value_kind:     global_buffer
      - .address_space:  global
        .offset:         56
        .size:           8
        .value_kind:     global_buffer
      - .address_space:  global
        .offset:         64
        .size:           8
        .value_kind:     global_buffer
      - .offset:         72
        .size:           4
        .value_kind:     by_value
      - .offset:         76
        .size:           4
        .value_kind:     by_value
      - .offset:         80
        .size:           8
        .value_kind:     by_value
      - .offset:         88
        .size:           8
        .value_kind:     by_value
      - .offset:         96
        .size:           8
        .value_kind:     by_value
      - .offset:         104
        .size:           8
        .value_kind:     by_value
      - .offset:         112
        .size:           1
        .value_kind:     by_value
    .group_segment_fixed_size: 33280
    .kernarg_segment_align: 8
    .kernarg_segment_size: 116
    .language:       OpenCL C
    .language_version:
      - 2
      - 0
    .max_flat_workgroup_size: 64
    .name:           _ZN9rocsparseL13bsrilu0_33_64ILj64ELj64ELj64E21rocsparse_complex_numIfEEEv20rocsparse_direction_iPKiS5_PT2_S5_iPiS5_S8_21rocsparse_index_base_imNS_24const_host_device_scalarIfEENSA_IdEENSA_IS6_EEb
    .private_segment_fixed_size: 0
    .sgpr_count:     74
    .sgpr_spill_count: 0
    .symbol:         _ZN9rocsparseL13bsrilu0_33_64ILj64ELj64ELj64E21rocsparse_complex_numIfEEEv20rocsparse_direction_iPKiS5_PT2_S5_iPiS5_S8_21rocsparse_index_base_imNS_24const_host_device_scalarIfEENSA_IdEENSA_IS6_EEb.kd
    .uniform_work_group_size: 1
    .uses_dynamic_stack: false
    .vgpr_count:     43
    .vgpr_spill_count: 0
    .wavefront_size: 64
  - .agpr_count:     0
    .args:
      - .offset:         0
        .size:           4
        .value_kind:     by_value
      - .offset:         4
        .size:           4
        .value_kind:     by_value
      - .address_space:  global
        .offset:         8
        .size:           8
        .value_kind:     global_buffer
      - .address_space:  global
        .offset:         16
        .size:           8
        .value_kind:     global_buffer
      - .address_space:  global
        .offset:         24
        .size:           8
        .value_kind:     global_buffer
      - .address_space:  global
        .offset:         32
        .size:           8
        .value_kind:     global_buffer
      - .offset:         40
        .size:           4
        .value_kind:     by_value
      - .address_space:  global
        .offset:         48
        .size:           8
        .value_kind:     global_buffer
      - .address_space:  global
        .offset:         56
        .size:           8
        .value_kind:     global_buffer
      - .address_space:  global
        .offset:         64
        .size:           8
        .value_kind:     global_buffer
      - .offset:         72
        .size:           4
        .value_kind:     by_value
      - .offset:         76
        .size:           4
        .value_kind:     by_value
      - .offset:         80
        .size:           8
        .value_kind:     by_value
      - .offset:         88
        .size:           8
        .value_kind:     by_value
      - .offset:         96
        .size:           8
        .value_kind:     by_value
      - .offset:         104
        .size:           8
        .value_kind:     by_value
      - .offset:         112
        .size:           1
        .value_kind:     by_value
    .group_segment_fixed_size: 0
    .kernarg_segment_align: 8
    .kernarg_segment_size: 116
    .language:       OpenCL C
    .language_version:
      - 2
      - 0
    .max_flat_workgroup_size: 128
    .name:           _ZN9rocsparseL15bsrilu0_generalILj128ELj64ELb0E21rocsparse_complex_numIfEEEv20rocsparse_direction_iPKiS5_PT2_S5_iPiS5_S8_21rocsparse_index_base_imNS_24const_host_device_scalarIfEENSA_IdEENSA_IS6_EEb
    .private_segment_fixed_size: 0
    .sgpr_count:     71
    .sgpr_spill_count: 0
    .symbol:         _ZN9rocsparseL15bsrilu0_generalILj128ELj64ELb0E21rocsparse_complex_numIfEEEv20rocsparse_direction_iPKiS5_PT2_S5_iPiS5_S8_21rocsparse_index_base_imNS_24const_host_device_scalarIfEENSA_IdEENSA_IS6_EEb.kd
    .uniform_work_group_size: 1
    .uses_dynamic_stack: false
    .vgpr_count:     45
    .vgpr_spill_count: 0
    .wavefront_size: 64
  - .agpr_count:     0
    .args:
      - .offset:         0
        .size:           4
        .value_kind:     by_value
      - .offset:         4
        .size:           4
        .value_kind:     by_value
      - .address_space:  global
        .offset:         8
        .size:           8
        .value_kind:     global_buffer
      - .address_space:  global
        .offset:         16
        .size:           8
        .value_kind:     global_buffer
      - .address_space:  global
        .offset:         24
        .size:           8
        .value_kind:     global_buffer
      - .address_space:  global
        .offset:         32
        .size:           8
        .value_kind:     global_buffer
      - .offset:         40
        .size:           4
        .value_kind:     by_value
      - .address_space:  global
        .offset:         48
        .size:           8
        .value_kind:     global_buffer
      - .address_space:  global
        .offset:         56
        .size:           8
        .value_kind:     global_buffer
      - .address_space:  global
        .offset:         64
        .size:           8
        .value_kind:     global_buffer
      - .offset:         72
        .size:           4
        .value_kind:     by_value
      - .offset:         76
        .size:           4
        .value_kind:     by_value
      - .offset:         80
        .size:           8
        .value_kind:     by_value
      - .offset:         88
        .size:           8
        .value_kind:     by_value
      - .offset:         96
        .size:           8
        .value_kind:     by_value
      - .offset:         104
        .size:           16
        .value_kind:     by_value
      - .offset:         120
        .size:           1
        .value_kind:     by_value
    .group_segment_fixed_size: 0
    .kernarg_segment_align: 8
    .kernarg_segment_size: 124
    .language:       OpenCL C
    .language_version:
      - 2
      - 0
    .max_flat_workgroup_size: 128
    .name:           _ZN9rocsparseL15bsrilu0_generalILj128ELj64ELb1E21rocsparse_complex_numIdEEEv20rocsparse_direction_iPKiS5_PT2_S5_iPiS5_S8_21rocsparse_index_base_imNS_24const_host_device_scalarIfEENSA_IdEENSA_IS6_EEb
    .private_segment_fixed_size: 48
    .sgpr_count:     75
    .sgpr_spill_count: 0
    .symbol:         _ZN9rocsparseL15bsrilu0_generalILj128ELj64ELb1E21rocsparse_complex_numIdEEEv20rocsparse_direction_iPKiS5_PT2_S5_iPiS5_S8_21rocsparse_index_base_imNS_24const_host_device_scalarIfEENSA_IdEENSA_IS6_EEb.kd
    .uniform_work_group_size: 1
    .uses_dynamic_stack: false
    .vgpr_count:     49
    .vgpr_spill_count: 0
    .wavefront_size: 64
  - .agpr_count:     0
    .args:
      - .offset:         0
        .size:           4
        .value_kind:     by_value
      - .offset:         4
        .size:           4
        .value_kind:     by_value
      - .address_space:  global
        .offset:         8
        .size:           8
        .value_kind:     global_buffer
      - .address_space:  global
        .offset:         16
        .size:           8
        .value_kind:     global_buffer
      - .address_space:  global
        .offset:         24
        .size:           8
        .value_kind:     global_buffer
      - .address_space:  global
        .offset:         32
        .size:           8
        .value_kind:     global_buffer
      - .offset:         40
        .size:           4
        .value_kind:     by_value
      - .address_space:  global
        .offset:         48
        .size:           8
        .value_kind:     global_buffer
      - .address_space:  global
        .offset:         56
        .size:           8
        .value_kind:     global_buffer
      - .address_space:  global
        .offset:         64
        .size:           8
        .value_kind:     global_buffer
      - .offset:         72
        .size:           4
        .value_kind:     by_value
      - .offset:         76
        .size:           4
        .value_kind:     by_value
      - .offset:         80
        .size:           8
        .value_kind:     by_value
      - .offset:         88
        .size:           8
        .value_kind:     by_value
      - .offset:         96
        .size:           8
        .value_kind:     by_value
      - .offset:         104
        .size:           16
        .value_kind:     by_value
      - .offset:         120
        .size:           1
        .value_kind:     by_value
    .group_segment_fixed_size: 0
    .kernarg_segment_align: 8
    .kernarg_segment_size: 124
    .language:       OpenCL C
    .language_version:
      - 2
      - 0
    .max_flat_workgroup_size: 128
    .name:           _ZN9rocsparseL15bsrilu0_generalILj128ELj32ELb0E21rocsparse_complex_numIdEEEv20rocsparse_direction_iPKiS5_PT2_S5_iPiS5_S8_21rocsparse_index_base_imNS_24const_host_device_scalarIfEENSA_IdEENSA_IS6_EEb
    .private_segment_fixed_size: 48
    .sgpr_count:     75
    .sgpr_spill_count: 0
    .symbol:         _ZN9rocsparseL15bsrilu0_generalILj128ELj32ELb0E21rocsparse_complex_numIdEEEv20rocsparse_direction_iPKiS5_PT2_S5_iPiS5_S8_21rocsparse_index_base_imNS_24const_host_device_scalarIfEENSA_IdEENSA_IS6_EEb.kd
    .uniform_work_group_size: 1
    .uses_dynamic_stack: false
    .vgpr_count:     49
    .vgpr_spill_count: 0
    .wavefront_size: 64
  - .agpr_count:     0
    .args:
      - .offset:         0
        .size:           4
        .value_kind:     by_value
      - .offset:         4
        .size:           4
        .value_kind:     by_value
      - .address_space:  global
        .offset:         8
        .size:           8
        .value_kind:     global_buffer
      - .address_space:  global
        .offset:         16
        .size:           8
        .value_kind:     global_buffer
      - .address_space:  global
        .offset:         24
        .size:           8
        .value_kind:     global_buffer
      - .address_space:  global
        .offset:         32
        .size:           8
        .value_kind:     global_buffer
      - .offset:         40
        .size:           4
        .value_kind:     by_value
      - .address_space:  global
        .offset:         48
        .size:           8
        .value_kind:     global_buffer
      - .address_space:  global
        .offset:         56
        .size:           8
        .value_kind:     global_buffer
      - .address_space:  global
        .offset:         64
        .size:           8
        .value_kind:     global_buffer
      - .offset:         72
        .size:           4
        .value_kind:     by_value
      - .offset:         76
        .size:           4
        .value_kind:     by_value
      - .offset:         80
        .size:           8
        .value_kind:     by_value
      - .offset:         88
        .size:           8
        .value_kind:     by_value
      - .offset:         96
        .size:           8
        .value_kind:     by_value
      - .offset:         104
        .size:           16
        .value_kind:     by_value
      - .offset:         120
        .size:           1
        .value_kind:     by_value
      - .offset:         128
        .size:           4
        .value_kind:     hidden_block_count_x
      - .offset:         132
        .size:           4
        .value_kind:     hidden_block_count_y
      - .offset:         136
        .size:           4
        .value_kind:     hidden_block_count_z
      - .offset:         140
        .size:           2
        .value_kind:     hidden_group_size_x
      - .offset:         142
        .size:           2
        .value_kind:     hidden_group_size_y
      - .offset:         144
        .size:           2
        .value_kind:     hidden_group_size_z
      - .offset:         146
        .size:           2
        .value_kind:     hidden_remainder_x
      - .offset:         148
        .size:           2
        .value_kind:     hidden_remainder_y
      - .offset:         150
        .size:           2
        .value_kind:     hidden_remainder_z
      - .offset:         168
        .size:           8
        .value_kind:     hidden_global_offset_x
      - .offset:         176
        .size:           8
        .value_kind:     hidden_global_offset_y
      - .offset:         184
        .size:           8
        .value_kind:     hidden_global_offset_z
      - .offset:         192
        .size:           2
        .value_kind:     hidden_grid_dims
    .group_segment_fixed_size: 2304
    .kernarg_segment_align: 8
    .kernarg_segment_size: 384
    .language:       OpenCL C
    .language_version:
      - 2
      - 0
    .max_flat_workgroup_size: 64
    .name:           _ZN9rocsparseL11bsrilu0_2_8ILj64ELj64ELj8E21rocsparse_complex_numIdEEEv20rocsparse_direction_iPKiS5_PT2_S5_iPiS5_S8_21rocsparse_index_base_imNS_24const_host_device_scalarIfEENSA_IdEENSA_IS6_EEb
    .private_segment_fixed_size: 48
    .sgpr_count:     68
    .sgpr_spill_count: 0
    .symbol:         _ZN9rocsparseL11bsrilu0_2_8ILj64ELj64ELj8E21rocsparse_complex_numIdEEEv20rocsparse_direction_iPKiS5_PT2_S5_iPiS5_S8_21rocsparse_index_base_imNS_24const_host_device_scalarIfEENSA_IdEENSA_IS6_EEb.kd
    .uniform_work_group_size: 1
    .uses_dynamic_stack: false
    .vgpr_count:     46
    .vgpr_spill_count: 0
    .wavefront_size: 64
  - .agpr_count:     0
    .args:
      - .offset:         0
        .size:           4
        .value_kind:     by_value
      - .offset:         4
        .size:           4
        .value_kind:     by_value
      - .address_space:  global
        .offset:         8
        .size:           8
        .value_kind:     global_buffer
      - .address_space:  global
        .offset:         16
        .size:           8
        .value_kind:     global_buffer
      - .address_space:  global
        .offset:         24
        .size:           8
        .value_kind:     global_buffer
      - .address_space:  global
        .offset:         32
        .size:           8
        .value_kind:     global_buffer
      - .offset:         40
        .size:           4
        .value_kind:     by_value
      - .address_space:  global
        .offset:         48
        .size:           8
        .value_kind:     global_buffer
      - .address_space:  global
        .offset:         56
        .size:           8
        .value_kind:     global_buffer
      - .address_space:  global
        .offset:         64
        .size:           8
        .value_kind:     global_buffer
      - .offset:         72
        .size:           4
        .value_kind:     by_value
      - .offset:         76
        .size:           4
        .value_kind:     by_value
      - .offset:         80
        .size:           8
        .value_kind:     by_value
      - .offset:         88
        .size:           8
        .value_kind:     by_value
      - .offset:         96
        .size:           8
        .value_kind:     by_value
      - .offset:         104
        .size:           16
        .value_kind:     by_value
      - .offset:         120
        .size:           1
        .value_kind:     by_value
    .group_segment_fixed_size: 8704
    .kernarg_segment_align: 8
    .kernarg_segment_size: 124
    .language:       OpenCL C
    .language_version:
      - 2
      - 0
    .max_flat_workgroup_size: 64
    .name:           _ZN9rocsparseL12bsrilu0_9_32ILj64ELj64ELj16E21rocsparse_complex_numIdEEEv20rocsparse_direction_iPKiS5_PT2_S5_iPiS5_S8_21rocsparse_index_base_imNS_24const_host_device_scalarIfEENSA_IdEENSA_IS6_EEb
    .private_segment_fixed_size: 48
    .sgpr_count:     73
    .sgpr_spill_count: 0
    .symbol:         _ZN9rocsparseL12bsrilu0_9_32ILj64ELj64ELj16E21rocsparse_complex_numIdEEEv20rocsparse_direction_iPKiS5_PT2_S5_iPiS5_S8_21rocsparse_index_base_imNS_24const_host_device_scalarIfEENSA_IdEENSA_IS6_EEb.kd
    .uniform_work_group_size: 1
    .uses_dynamic_stack: false
    .vgpr_count:     46
    .vgpr_spill_count: 0
    .wavefront_size: 64
  - .agpr_count:     0
    .args:
      - .offset:         0
        .size:           4
        .value_kind:     by_value
      - .offset:         4
        .size:           4
        .value_kind:     by_value
      - .address_space:  global
        .offset:         8
        .size:           8
        .value_kind:     global_buffer
      - .address_space:  global
        .offset:         16
        .size:           8
        .value_kind:     global_buffer
      - .address_space:  global
        .offset:         24
        .size:           8
        .value_kind:     global_buffer
      - .address_space:  global
        .offset:         32
        .size:           8
        .value_kind:     global_buffer
      - .offset:         40
        .size:           4
        .value_kind:     by_value
      - .address_space:  global
        .offset:         48
        .size:           8
        .value_kind:     global_buffer
      - .address_space:  global
        .offset:         56
        .size:           8
        .value_kind:     global_buffer
      - .address_space:  global
        .offset:         64
        .size:           8
        .value_kind:     global_buffer
      - .offset:         72
        .size:           4
        .value_kind:     by_value
      - .offset:         76
        .size:           4
        .value_kind:     by_value
      - .offset:         80
        .size:           8
        .value_kind:     by_value
      - .offset:         88
        .size:           8
        .value_kind:     by_value
      - .offset:         96
        .size:           8
        .value_kind:     by_value
      - .offset:         104
        .size:           16
        .value_kind:     by_value
      - .offset:         120
        .size:           1
        .value_kind:     by_value
    .group_segment_fixed_size: 33792
    .kernarg_segment_align: 8
    .kernarg_segment_size: 124
    .language:       OpenCL C
    .language_version:
      - 2
      - 0
    .max_flat_workgroup_size: 64
    .name:           _ZN9rocsparseL12bsrilu0_9_32ILj64ELj64ELj32E21rocsparse_complex_numIdEEEv20rocsparse_direction_iPKiS5_PT2_S5_iPiS5_S8_21rocsparse_index_base_imNS_24const_host_device_scalarIfEENSA_IdEENSA_IS6_EEb
    .private_segment_fixed_size: 48
    .sgpr_count:     73
    .sgpr_spill_count: 0
    .symbol:         _ZN9rocsparseL12bsrilu0_9_32ILj64ELj64ELj32E21rocsparse_complex_numIdEEEv20rocsparse_direction_iPKiS5_PT2_S5_iPiS5_S8_21rocsparse_index_base_imNS_24const_host_device_scalarIfEENSA_IdEENSA_IS6_EEb.kd
    .uniform_work_group_size: 1
    .uses_dynamic_stack: false
    .vgpr_count:     46
    .vgpr_spill_count: 0
    .wavefront_size: 64
  - .agpr_count:     0
    .args:
      - .offset:         0
        .size:           4
        .value_kind:     by_value
      - .offset:         4
        .size:           4
        .value_kind:     by_value
      - .address_space:  global
        .offset:         8
        .size:           8
        .value_kind:     global_buffer
      - .address_space:  global
        .offset:         16
        .size:           8
        .value_kind:     global_buffer
      - .address_space:  global
        .offset:         24
        .size:           8
        .value_kind:     global_buffer
      - .address_space:  global
        .offset:         32
        .size:           8
        .value_kind:     global_buffer
      - .offset:         40
        .size:           4
        .value_kind:     by_value
      - .address_space:  global
        .offset:         48
        .size:           8
        .value_kind:     global_buffer
      - .address_space:  global
        .offset:         56
        .size:           8
        .value_kind:     global_buffer
      - .address_space:  global
        .offset:         64
        .size:           8
        .value_kind:     global_buffer
      - .offset:         72
        .size:           4
        .value_kind:     by_value
      - .offset:         76
        .size:           4
        .value_kind:     by_value
      - .offset:         80
        .size:           8
        .value_kind:     by_value
      - .offset:         88
        .size:           8
        .value_kind:     by_value
      - .offset:         96
        .size:           8
        .value_kind:     by_value
      - .offset:         104
        .size:           16
        .value_kind:     by_value
      - .offset:         120
        .size:           1
        .value_kind:     by_value
    .group_segment_fixed_size: 0
    .kernarg_segment_align: 8
    .kernarg_segment_size: 124
    .language:       OpenCL C
    .language_version:
      - 2
      - 0
    .max_flat_workgroup_size: 128
    .name:           _ZN9rocsparseL15bsrilu0_generalILj128ELj64ELb0E21rocsparse_complex_numIdEEEv20rocsparse_direction_iPKiS5_PT2_S5_iPiS5_S8_21rocsparse_index_base_imNS_24const_host_device_scalarIfEENSA_IdEENSA_IS6_EEb
    .private_segment_fixed_size: 48
    .sgpr_count:     75
    .sgpr_spill_count: 0
    .symbol:         _ZN9rocsparseL15bsrilu0_generalILj128ELj64ELb0E21rocsparse_complex_numIdEEEv20rocsparse_direction_iPKiS5_PT2_S5_iPiS5_S8_21rocsparse_index_base_imNS_24const_host_device_scalarIfEENSA_IdEENSA_IS6_EEb.kd
    .uniform_work_group_size: 1
    .uses_dynamic_stack: false
    .vgpr_count:     49
    .vgpr_spill_count: 0
    .wavefront_size: 64
amdhsa.target:   amdgcn-amd-amdhsa--gfx90a
amdhsa.version:
  - 1
  - 2
...

	.end_amdgpu_metadata
